;; amdgpu-corpus repo=ROCm/rocBLAS kind=compiled arch=gfx1100 opt=O3
	.text
	.amdgcn_target "amdgcn-amd-amdhsa--gfx1100"
	.amdhsa_code_object_version 6
	.section	.text._ZL18rocblas_her_kernelILi1024EPKfPK19rocblas_complex_numIfEPS3_EvbiT0_T1_lllT2_llli,"axG",@progbits,_ZL18rocblas_her_kernelILi1024EPKfPK19rocblas_complex_numIfEPS3_EvbiT0_T1_lllT2_llli,comdat
	.globl	_ZL18rocblas_her_kernelILi1024EPKfPK19rocblas_complex_numIfEPS3_EvbiT0_T1_lllT2_llli ; -- Begin function _ZL18rocblas_her_kernelILi1024EPKfPK19rocblas_complex_numIfEPS3_EvbiT0_T1_lllT2_llli
	.p2align	8
	.type	_ZL18rocblas_her_kernelILi1024EPKfPK19rocblas_complex_numIfEPS3_EvbiT0_T1_lllT2_llli,@function
_ZL18rocblas_her_kernelILi1024EPKfPK19rocblas_complex_numIfEPS3_EvbiT0_T1_lllT2_llli: ; @_ZL18rocblas_her_kernelILi1024EPKfPK19rocblas_complex_numIfEPS3_EvbiT0_T1_lllT2_llli
; %bb.0:
	s_load_b512 s[16:31], s[0:1], 0x8
	s_waitcnt lgkmcnt(0)
	s_load_b32 s16, s[16:17], 0x0
	s_waitcnt lgkmcnt(0)
	v_cmp_eq_f32_e64 s2, s16, 0
	s_delay_alu instid0(VALU_DEP_1)
	s_and_b32 vcc_lo, exec_lo, s2
	s_cbranch_vccnz .LBB0_15
; %bb.1:
	s_clause 0x1
	s_load_b64 s[2:3], s[0:1], 0x48
	s_load_b64 s[0:1], s[0:1], 0x0
	s_mul_i32 s8, s15, s25
	s_mul_hi_u32 s9, s15, s24
	s_mul_i32 s12, s14, s29
	s_mul_i32 s25, s14, s23
	s_waitcnt lgkmcnt(0)
	s_mul_i32 s3, s15, s3
	s_mul_hi_u32 s4, s15, s2
	s_mul_i32 s2, s15, s2
	s_add_i32 s3, s4, s3
	s_and_b32 s0, s0, 1
	s_lshl_b64 s[4:5], s[2:3], 3
	s_mul_i32 s2, s15, s24
	s_add_u32 s3, s26, s4
	s_addc_u32 s10, s27, s5
	s_lshl_b64 s[6:7], s[30:31], 3
	v_cmp_gt_i32_e32 vcc_lo, s1, v0
	s_add_u32 s17, s3, s6
	s_addc_u32 s24, s10, s7
	s_add_i32 s3, s9, s8
	s_delay_alu instid0(SALU_CYCLE_1)
	s_lshl_b64 s[8:9], s[2:3], 3
	s_mul_hi_u32 s3, s14, s28
	s_add_u32 s13, s18, s8
	s_addc_u32 s15, s19, s9
	s_lshl_b64 s[10:11], s[20:21], 3
	s_mul_i32 s2, s14, s28
	s_add_u32 s20, s13, s10
	s_addc_u32 s21, s15, s11
	s_ashr_i32 s15, s14, 31
	s_add_i32 s3, s3, s12
	s_mul_i32 s12, s15, s28
	s_mul_hi_u32 s28, s14, s22
	s_add_i32 s3, s3, s12
	v_cndmask_b32_e32 v1, 0, v0, vcc_lo
	s_lshl_b64 s[12:13], s[2:3], 3
	s_mul_i32 s3, s15, s22
	s_add_u32 s17, s12, s17
	s_addc_u32 s29, s13, s24
	s_add_i32 s24, s28, s25
	s_mul_i32 s2, s14, s22
	s_add_i32 s3, s24, s3
	v_lshlrev_b32_e32 v3, 3, v1
	s_lshl_b64 s[2:3], s[2:3], 3
	s_delay_alu instid0(SALU_CYCLE_1) | instskip(SKIP_1) | instid1(VALU_DEP_1)
	s_add_u32 s2, s20, s2
	s_addc_u32 s3, s21, s3
	v_add_co_u32 v9, s17, s17, v3
	s_load_b64 s[24:25], s[2:3], 0x0
	v_add_co_ci_u32_e64 v10, null, s29, 0, s17
	s_cmp_eq_u32 s0, 0
	s_mov_b32 s0, -1
	s_waitcnt lgkmcnt(0)
	v_mul_f32_e64 v7, s25, 0
	v_mul_f32_e64 v1, s16, s25
	s_delay_alu instid0(VALU_DEP_2) | instskip(NEXT) | instid1(VALU_DEP_2)
	v_fmac_f32_e64 v7, s16, s24
	v_fma_f32 v8, s24, 0, -v1
	s_cbranch_scc0 .LBB0_8
; %bb.2:
	s_mov_b32 s0, exec_lo
	v_cmpx_eq_u32_e32 0, v0
	s_cbranch_execz .LBB0_4
; %bb.3:
	s_lshl_b64 s[16:17], s[14:15], 3
	s_delay_alu instid0(SALU_CYCLE_1)
	v_add_co_u32 v1, vcc_lo, v9, s16
	v_add_co_ci_u32_e32 v2, vcc_lo, s17, v10, vcc_lo
	s_load_b64 s[16:17], s[2:3], 0x0
	global_load_b32 v4, v[1:2], off
	s_waitcnt lgkmcnt(0)
	v_mul_f32_e32 v5, s17, v8
	s_delay_alu instid0(VALU_DEP_1) | instskip(SKIP_1) | instid1(VALU_DEP_1)
	v_fma_f32 v5, v7, s16, -v5
	s_waitcnt vmcnt(0)
	v_dual_add_f32 v4, v4, v5 :: v_dual_mov_b32 v5, 0
	global_store_b64 v[1:2], v[4:5], off
.LBB0_4:
	s_or_b32 exec_lo, exec_lo, s0
	s_add_i32 s16, s14, 1
	s_mov_b32 s15, exec_lo
	v_add_nc_u32_e32 v4, s16, v0
	s_delay_alu instid0(VALU_DEP_1)
	v_cmpx_gt_i32_e64 s1, v4
	s_cbranch_execz .LBB0_7
; %bb.5:
	s_add_u32 s0, s12, s4
	s_addc_u32 s17, s13, s5
	s_add_u32 s0, s0, s6
	s_addc_u32 s24, s17, s7
	s_ashr_i32 s17, s16, 31
	s_delay_alu instid0(SALU_CYCLE_1) | instskip(NEXT) | instid1(SALU_CYCLE_1)
	s_lshl_b64 s[16:17], s[16:17], 3
	s_add_u32 s0, s0, s16
	s_addc_u32 s16, s24, s17
	s_add_u32 s0, s26, s0
	s_addc_u32 s16, s27, s16
	v_add_co_u32 v1, s0, s0, v3
	s_delay_alu instid0(VALU_DEP_1) | instskip(SKIP_1) | instid1(VALU_DEP_2)
	v_add_co_ci_u32_e64 v2, null, s16, 0, s0
	s_mov_b32 s16, 0
	v_add_co_u32 v1, vcc_lo, v1, 4
	s_delay_alu instid0(VALU_DEP_2)
	v_add_co_ci_u32_e32 v2, vcc_lo, 0, v2, vcc_lo
	s_set_inst_prefetch_distance 0x1
	.p2align	6
.LBB0_6:                                ; =>This Inner Loop Header: Depth=1
	v_ashrrev_i32_e32 v11, 31, v4
	v_mul_lo_u32 v12, v4, s23
	v_mad_u64_u32 v[5:6], null, v4, s22, 0
	s_delay_alu instid0(VALU_DEP_3) | instskip(NEXT) | instid1(VALU_DEP_1)
	v_mul_lo_u32 v11, v11, s22
	v_add3_u32 v6, v6, v12, v11
	s_delay_alu instid0(VALU_DEP_1) | instskip(NEXT) | instid1(VALU_DEP_1)
	v_lshlrev_b64 v[5:6], 3, v[5:6]
	v_add_co_u32 v5, vcc_lo, s20, v5
	s_delay_alu instid0(VALU_DEP_2)
	v_add_co_ci_u32_e32 v6, vcc_lo, s21, v6, vcc_lo
	global_load_b64 v[5:6], v[5:6], off
	global_load_b64 v[11:12], v[1:2], off offset:-4
	s_waitcnt vmcnt(1)
	v_dual_mul_f32 v13, v8, v6 :: v_dual_add_nc_u32 v4, 0x400, v4
	v_mul_f32_e32 v6, v7, v6
	s_delay_alu instid0(VALU_DEP_2) | instskip(NEXT) | instid1(VALU_DEP_3)
	v_cmp_le_i32_e32 vcc_lo, s1, v4
	v_fma_f32 v13, v7, v5, -v13
	s_delay_alu instid0(VALU_DEP_3) | instskip(SKIP_2) | instid1(VALU_DEP_1)
	v_fmac_f32_e32 v6, v8, v5
	s_or_b32 s16, vcc_lo, s16
	s_waitcnt vmcnt(0)
	v_dual_add_f32 v5, v11, v13 :: v_dual_add_f32 v6, v12, v6
	global_store_b64 v[1:2], v[5:6], off offset:-4
	v_add_co_u32 v1, s0, 0x2000, v1
	s_delay_alu instid0(VALU_DEP_1)
	v_add_co_ci_u32_e64 v2, s0, 0, v2, s0
	s_and_not1_b32 exec_lo, exec_lo, s16
	s_cbranch_execnz .LBB0_6
.LBB0_7:
	s_set_inst_prefetch_distance 0x2
	s_or_b32 exec_lo, exec_lo, s15
	s_mov_b32 s0, 0
.LBB0_8:
	s_delay_alu instid0(SALU_CYCLE_1)
	s_and_b32 vcc_lo, exec_lo, s0
	s_cbranch_vccz .LBB0_15
; %bb.9:
	v_mov_b32_e32 v5, 0
	v_dual_mov_b32 v6, 0 :: v_dual_mov_b32 v11, v0
	s_mov_b32 s1, exec_lo
	v_cmpx_gt_i32_e64 s14, v0
	s_cbranch_execz .LBB0_13
; %bb.10:
	v_mad_u64_u32 v[1:2], null, s22, v0, 0
	s_add_u32 s0, s18, s10
	s_addc_u32 s10, s19, s11
	s_add_u32 s0, s0, s8
	s_addc_u32 s10, s10, s9
	s_lshl_b64 s[8:9], s[22:23], 13
	s_add_u32 s4, s12, s4
	s_delay_alu instid0(VALU_DEP_1)
	v_mad_u64_u32 v[4:5], null, s23, v0, v[2:3]
	s_addc_u32 s5, s13, s5
	s_add_u32 s4, s4, s6
	s_addc_u32 s5, s5, s7
	s_add_u32 s4, s26, s4
	s_addc_u32 s5, s27, s5
	s_delay_alu instid0(VALU_DEP_1) | instskip(NEXT) | instid1(VALU_DEP_1)
	v_mov_b32_e32 v2, v4
	v_lshlrev_b64 v[1:2], 3, v[1:2]
	s_delay_alu instid0(VALU_DEP_1) | instskip(NEXT) | instid1(VALU_DEP_2)
	v_add_co_u32 v1, vcc_lo, s0, v1
	v_add_co_ci_u32_e32 v2, vcc_lo, s10, v2, vcc_lo
	v_add_co_u32 v3, s0, s4, v3
	s_delay_alu instid0(VALU_DEP_1) | instskip(NEXT) | instid1(VALU_DEP_4)
	v_add_co_ci_u32_e64 v4, null, s5, 0, s0
	v_add_co_u32 v1, vcc_lo, v1, 4
	s_delay_alu instid0(VALU_DEP_4) | instskip(NEXT) | instid1(VALU_DEP_4)
	v_add_co_ci_u32_e32 v2, vcc_lo, 0, v2, vcc_lo
	v_add_co_u32 v3, vcc_lo, v3, 4
	s_delay_alu instid0(VALU_DEP_4)
	v_add_co_ci_u32_e32 v4, vcc_lo, 0, v4, vcc_lo
	s_mov_b32 s4, 0
	s_mov_b32 s5, 0
	.p2align	6
.LBB0_11:                               ; =>This Inner Loop Header: Depth=1
	global_load_b64 v[12:13], v[1:2], off offset:-4
	global_load_b64 v[14:15], v[3:4], off offset:-4
	s_addk_i32 s5, 0x400
	v_add_co_u32 v1, vcc_lo, v1, s8
	v_add_nc_u32_e32 v11, s5, v0
	v_add_co_ci_u32_e32 v2, vcc_lo, s9, v2, vcc_lo
	s_waitcnt vmcnt(1)
	v_mul_f32_e32 v6, v8, v13
	v_mul_f32_e32 v13, v7, v13
	v_cmp_le_i32_e32 vcc_lo, s14, v11
	s_delay_alu instid0(VALU_DEP_3) | instskip(NEXT) | instid1(VALU_DEP_3)
	v_fma_f32 v6, v7, v12, -v6
	v_fmac_f32_e32 v13, v8, v12
	v_mov_b32_e32 v5, s5
	s_or_b32 s4, vcc_lo, s4
	s_waitcnt vmcnt(0)
	s_delay_alu instid0(VALU_DEP_2) | instskip(SKIP_2) | instid1(VALU_DEP_1)
	v_dual_add_f32 v12, v14, v6 :: v_dual_add_f32 v13, v15, v13
	global_store_b64 v[3:4], v[12:13], off offset:-4
	v_add_co_u32 v3, s0, 0x2000, v3
	v_add_co_ci_u32_e64 v4, s0, 0, v4, s0
	s_and_not1_b32 exec_lo, exec_lo, s4
	s_cbranch_execnz .LBB0_11
; %bb.12:
	s_or_b32 exec_lo, exec_lo, s4
	v_mov_b32_e32 v6, 0
.LBB0_13:
	s_or_b32 exec_lo, exec_lo, s1
	s_delay_alu instid0(SALU_CYCLE_1)
	s_mov_b32 s0, exec_lo
	v_cmpx_eq_u32_e64 s14, v11
	s_cbranch_execz .LBB0_15
; %bb.14:
	v_lshlrev_b64 v[0:1], 3, v[5:6]
	s_load_b64 s[0:1], s[2:3], 0x0
	s_delay_alu instid0(VALU_DEP_1) | instskip(NEXT) | instid1(VALU_DEP_2)
	v_add_co_u32 v0, vcc_lo, v9, v0
	v_add_co_ci_u32_e32 v1, vcc_lo, v10, v1, vcc_lo
	global_load_b32 v2, v[0:1], off
	s_waitcnt lgkmcnt(0)
	v_mul_f32_e32 v3, s1, v8
	s_delay_alu instid0(VALU_DEP_1) | instskip(SKIP_1) | instid1(VALU_DEP_1)
	v_fma_f32 v3, v7, s0, -v3
	s_waitcnt vmcnt(0)
	v_dual_add_f32 v2, v2, v3 :: v_dual_mov_b32 v3, 0
	global_store_b64 v[0:1], v[2:3], off
.LBB0_15:
	s_nop 0
	s_sendmsg sendmsg(MSG_DEALLOC_VGPRS)
	s_endpgm
	.section	.rodata,"a",@progbits
	.p2align	6, 0x0
	.amdhsa_kernel _ZL18rocblas_her_kernelILi1024EPKfPK19rocblas_complex_numIfEPS3_EvbiT0_T1_lllT2_llli
		.amdhsa_group_segment_fixed_size 0
		.amdhsa_private_segment_fixed_size 0
		.amdhsa_kernarg_size 84
		.amdhsa_user_sgpr_count 14
		.amdhsa_user_sgpr_dispatch_ptr 0
		.amdhsa_user_sgpr_queue_ptr 0
		.amdhsa_user_sgpr_kernarg_segment_ptr 1
		.amdhsa_user_sgpr_dispatch_id 0
		.amdhsa_user_sgpr_private_segment_size 0
		.amdhsa_wavefront_size32 1
		.amdhsa_uses_dynamic_stack 0
		.amdhsa_enable_private_segment 0
		.amdhsa_system_sgpr_workgroup_id_x 1
		.amdhsa_system_sgpr_workgroup_id_y 0
		.amdhsa_system_sgpr_workgroup_id_z 1
		.amdhsa_system_sgpr_workgroup_info 0
		.amdhsa_system_vgpr_workitem_id 0
		.amdhsa_next_free_vgpr 16
		.amdhsa_next_free_sgpr 32
		.amdhsa_reserve_vcc 1
		.amdhsa_float_round_mode_32 0
		.amdhsa_float_round_mode_16_64 0
		.amdhsa_float_denorm_mode_32 3
		.amdhsa_float_denorm_mode_16_64 3
		.amdhsa_dx10_clamp 1
		.amdhsa_ieee_mode 1
		.amdhsa_fp16_overflow 0
		.amdhsa_workgroup_processor_mode 1
		.amdhsa_memory_ordered 1
		.amdhsa_forward_progress 0
		.amdhsa_shared_vgpr_count 0
		.amdhsa_exception_fp_ieee_invalid_op 0
		.amdhsa_exception_fp_denorm_src 0
		.amdhsa_exception_fp_ieee_div_zero 0
		.amdhsa_exception_fp_ieee_overflow 0
		.amdhsa_exception_fp_ieee_underflow 0
		.amdhsa_exception_fp_ieee_inexact 0
		.amdhsa_exception_int_div_zero 0
	.end_amdhsa_kernel
	.section	.text._ZL18rocblas_her_kernelILi1024EPKfPK19rocblas_complex_numIfEPS3_EvbiT0_T1_lllT2_llli,"axG",@progbits,_ZL18rocblas_her_kernelILi1024EPKfPK19rocblas_complex_numIfEPS3_EvbiT0_T1_lllT2_llli,comdat
.Lfunc_end0:
	.size	_ZL18rocblas_her_kernelILi1024EPKfPK19rocblas_complex_numIfEPS3_EvbiT0_T1_lllT2_llli, .Lfunc_end0-_ZL18rocblas_her_kernelILi1024EPKfPK19rocblas_complex_numIfEPS3_EvbiT0_T1_lllT2_llli
                                        ; -- End function
	.section	.AMDGPU.csdata,"",@progbits
; Kernel info:
; codeLenInByte = 1176
; NumSgprs: 34
; NumVgprs: 16
; ScratchSize: 0
; MemoryBound: 0
; FloatMode: 240
; IeeeMode: 1
; LDSByteSize: 0 bytes/workgroup (compile time only)
; SGPRBlocks: 4
; VGPRBlocks: 1
; NumSGPRsForWavesPerEU: 34
; NumVGPRsForWavesPerEU: 16
; Occupancy: 16
; WaveLimiterHint : 1
; COMPUTE_PGM_RSRC2:SCRATCH_EN: 0
; COMPUTE_PGM_RSRC2:USER_SGPR: 14
; COMPUTE_PGM_RSRC2:TRAP_HANDLER: 0
; COMPUTE_PGM_RSRC2:TGID_X_EN: 1
; COMPUTE_PGM_RSRC2:TGID_Y_EN: 0
; COMPUTE_PGM_RSRC2:TGID_Z_EN: 1
; COMPUTE_PGM_RSRC2:TIDIG_COMP_CNT: 0
	.section	.text._ZL18rocblas_her_kernelILi1024EfPK19rocblas_complex_numIfEPS1_EvbiT0_T1_lllT2_llli,"axG",@progbits,_ZL18rocblas_her_kernelILi1024EfPK19rocblas_complex_numIfEPS1_EvbiT0_T1_lllT2_llli,comdat
	.globl	_ZL18rocblas_her_kernelILi1024EfPK19rocblas_complex_numIfEPS1_EvbiT0_T1_lllT2_llli ; -- Begin function _ZL18rocblas_her_kernelILi1024EfPK19rocblas_complex_numIfEPS1_EvbiT0_T1_lllT2_llli
	.p2align	8
	.type	_ZL18rocblas_her_kernelILi1024EfPK19rocblas_complex_numIfEPS1_EvbiT0_T1_lllT2_llli,@function
_ZL18rocblas_her_kernelILi1024EfPK19rocblas_complex_numIfEPS1_EvbiT0_T1_lllT2_llli: ; @_ZL18rocblas_her_kernelILi1024EfPK19rocblas_complex_numIfEPS1_EvbiT0_T1_lllT2_llli
; %bb.0:
	s_load_b128 s[4:7], s[0:1], 0x0
	s_waitcnt lgkmcnt(0)
	v_cmp_eq_f32_e64 s2, s6, 0
	s_delay_alu instid0(VALU_DEP_1)
	s_and_b32 vcc_lo, exec_lo, s2
	s_cbranch_vccnz .LBB1_15
; %bb.1:
	s_load_b512 s[16:31], s[0:1], 0x10
	s_and_b32 s33, s4, 1
	v_cmp_gt_i32_e32 vcc_lo, s5, v0
	v_cndmask_b32_e32 v1, 0, v0, vcc_lo
	s_delay_alu instid0(VALU_DEP_1)
	v_lshlrev_b32_e32 v3, 3, v1
	s_waitcnt lgkmcnt(0)
	s_mul_i32 s1, s15, s31
	s_mul_hi_u32 s2, s15, s30
	s_mul_i32 s0, s15, s30
	s_add_i32 s1, s2, s1
	s_mul_i32 s2, s15, s23
	s_lshl_b64 s[8:9], s[0:1], 3
	s_mul_hi_u32 s1, s15, s22
	s_add_u32 s3, s24, s8
	s_addc_u32 s4, s25, s9
	s_lshl_b64 s[10:11], s[28:29], 3
	s_mul_i32 s0, s15, s22
	s_add_u32 s3, s3, s10
	s_addc_u32 s28, s4, s11
	s_add_i32 s1, s1, s2
	s_mul_i32 s2, s14, s27
	s_lshl_b64 s[12:13], s[0:1], 3
	s_mul_hi_u32 s1, s14, s26
	s_add_u32 s4, s16, s12
	s_addc_u32 s7, s17, s13
	s_lshl_b64 s[18:19], s[18:19], 3
	s_mul_i32 s0, s14, s26
	s_add_u32 s4, s4, s18
	s_addc_u32 s7, s7, s19
	s_ashr_i32 s15, s14, 31
	s_add_i32 s1, s1, s2
	s_mul_i32 s2, s15, s26
	s_mul_i32 s26, s14, s21
	s_add_i32 s1, s1, s2
	s_mul_hi_u32 s2, s14, s20
	s_lshl_b64 s[22:23], s[0:1], 3
	s_mul_i32 s1, s15, s20
	s_add_u32 s27, s22, s3
	s_addc_u32 s28, s23, s28
	s_add_i32 s2, s2, s26
	s_mul_i32 s0, s14, s20
	s_add_i32 s1, s2, s1
	s_delay_alu instid0(SALU_CYCLE_1) | instskip(NEXT) | instid1(SALU_CYCLE_1)
	s_lshl_b64 s[0:1], s[0:1], 3
	s_add_u32 s2, s4, s0
	s_addc_u32 s3, s7, s1
	s_cmp_eq_u32 s33, 0
	s_load_b64 s[0:1], s[2:3], 0x0
	s_waitcnt lgkmcnt(0)
	v_mul_f32_e64 v7, s1, 0
	v_mul_f32_e64 v1, s1, s6
	v_add_co_u32 v9, s1, s27, v3
	s_delay_alu instid0(VALU_DEP_1) | instskip(NEXT) | instid1(VALU_DEP_4)
	v_add_co_ci_u32_e64 v10, null, s28, 0, s1
	v_fmac_f32_e64 v7, s0, s6
	s_delay_alu instid0(VALU_DEP_4)
	v_fma_f32 v8, s0, 0, -v1
	s_mov_b32 s0, -1
	s_cbranch_scc0 .LBB1_8
; %bb.2:
	s_mov_b32 s0, exec_lo
	v_cmpx_eq_u32_e32 0, v0
	s_cbranch_execz .LBB1_4
; %bb.3:
	s_lshl_b64 s[26:27], s[14:15], 3
	s_delay_alu instid0(SALU_CYCLE_1)
	v_add_co_u32 v1, vcc_lo, v9, s26
	v_add_co_ci_u32_e32 v2, vcc_lo, s27, v10, vcc_lo
	s_load_b64 s[26:27], s[2:3], 0x0
	global_load_b32 v4, v[1:2], off
	s_waitcnt lgkmcnt(0)
	v_mul_f32_e32 v5, s27, v8
	s_delay_alu instid0(VALU_DEP_1) | instskip(SKIP_1) | instid1(VALU_DEP_1)
	v_fma_f32 v5, v7, s26, -v5
	s_waitcnt vmcnt(0)
	v_dual_add_f32 v4, v4, v5 :: v_dual_mov_b32 v5, 0
	global_store_b64 v[1:2], v[4:5], off
.LBB1_4:
	s_or_b32 exec_lo, exec_lo, s0
	s_add_i32 s0, s14, 1
	s_mov_b32 s6, exec_lo
	v_add_nc_u32_e32 v4, s0, v0
	s_delay_alu instid0(VALU_DEP_1)
	v_cmpx_gt_i32_e64 s5, v4
	s_cbranch_execz .LBB1_7
; %bb.5:
	s_add_u32 s1, s22, s8
	s_addc_u32 s15, s23, s9
	s_add_u32 s26, s1, s10
	s_addc_u32 s15, s15, s11
	s_ashr_i32 s1, s0, 31
	s_delay_alu instid0(SALU_CYCLE_1) | instskip(NEXT) | instid1(SALU_CYCLE_1)
	s_lshl_b64 s[0:1], s[0:1], 3
	s_add_u32 s0, s26, s0
	s_addc_u32 s1, s15, s1
	s_add_u32 s0, s24, s0
	s_addc_u32 s1, s25, s1
	v_add_co_u32 v1, s0, s0, v3
	s_delay_alu instid0(VALU_DEP_1) | instskip(SKIP_1) | instid1(VALU_DEP_2)
	v_add_co_ci_u32_e64 v2, null, s1, 0, s0
	s_mov_b32 s1, 0
	v_add_co_u32 v1, vcc_lo, v1, 4
	s_delay_alu instid0(VALU_DEP_2)
	v_add_co_ci_u32_e32 v2, vcc_lo, 0, v2, vcc_lo
	s_set_inst_prefetch_distance 0x1
	.p2align	6
.LBB1_6:                                ; =>This Inner Loop Header: Depth=1
	v_ashrrev_i32_e32 v11, 31, v4
	v_mul_lo_u32 v12, v4, s21
	v_mad_u64_u32 v[5:6], null, v4, s20, 0
	s_delay_alu instid0(VALU_DEP_3) | instskip(NEXT) | instid1(VALU_DEP_1)
	v_mul_lo_u32 v11, v11, s20
	v_add3_u32 v6, v6, v12, v11
	s_delay_alu instid0(VALU_DEP_1) | instskip(NEXT) | instid1(VALU_DEP_1)
	v_lshlrev_b64 v[5:6], 3, v[5:6]
	v_add_co_u32 v5, vcc_lo, s4, v5
	s_delay_alu instid0(VALU_DEP_2)
	v_add_co_ci_u32_e32 v6, vcc_lo, s7, v6, vcc_lo
	global_load_b64 v[5:6], v[5:6], off
	global_load_b64 v[11:12], v[1:2], off offset:-4
	s_waitcnt vmcnt(1)
	v_dual_mul_f32 v13, v8, v6 :: v_dual_add_nc_u32 v4, 0x400, v4
	v_mul_f32_e32 v6, v7, v6
	s_delay_alu instid0(VALU_DEP_2) | instskip(NEXT) | instid1(VALU_DEP_3)
	v_cmp_le_i32_e32 vcc_lo, s5, v4
	v_fma_f32 v13, v7, v5, -v13
	s_delay_alu instid0(VALU_DEP_3) | instskip(SKIP_2) | instid1(VALU_DEP_1)
	v_fmac_f32_e32 v6, v8, v5
	s_or_b32 s1, vcc_lo, s1
	s_waitcnt vmcnt(0)
	v_dual_add_f32 v5, v11, v13 :: v_dual_add_f32 v6, v12, v6
	global_store_b64 v[1:2], v[5:6], off offset:-4
	v_add_co_u32 v1, s0, 0x2000, v1
	s_delay_alu instid0(VALU_DEP_1)
	v_add_co_ci_u32_e64 v2, s0, 0, v2, s0
	s_and_not1_b32 exec_lo, exec_lo, s1
	s_cbranch_execnz .LBB1_6
.LBB1_7:
	s_set_inst_prefetch_distance 0x2
	s_or_b32 exec_lo, exec_lo, s6
	s_mov_b32 s0, 0
.LBB1_8:
	s_delay_alu instid0(SALU_CYCLE_1)
	s_and_b32 vcc_lo, exec_lo, s0
	s_cbranch_vccz .LBB1_15
; %bb.9:
	v_mov_b32_e32 v5, 0
	v_dual_mov_b32 v6, 0 :: v_dual_mov_b32 v11, v0
	s_mov_b32 s1, exec_lo
	v_cmpx_gt_i32_e64 s14, v0
	s_cbranch_execz .LBB1_13
; %bb.10:
	v_mad_u64_u32 v[1:2], null, s20, v0, 0
	s_add_u32 s0, s16, s18
	s_addc_u32 s4, s17, s19
	s_add_u32 s0, s0, s12
	s_addc_u32 s6, s4, s13
	s_lshl_b64 s[4:5], s[20:21], 13
	s_add_u32 s7, s22, s8
	s_delay_alu instid0(VALU_DEP_1)
	v_mad_u64_u32 v[4:5], null, s21, v0, v[2:3]
	s_addc_u32 s8, s23, s9
	s_add_u32 s7, s7, s10
	s_addc_u32 s8, s8, s11
	s_add_u32 s7, s24, s7
	s_addc_u32 s8, s25, s8
	s_delay_alu instid0(VALU_DEP_1) | instskip(NEXT) | instid1(VALU_DEP_1)
	v_mov_b32_e32 v2, v4
	v_lshlrev_b64 v[1:2], 3, v[1:2]
	s_delay_alu instid0(VALU_DEP_1) | instskip(NEXT) | instid1(VALU_DEP_2)
	v_add_co_u32 v1, vcc_lo, s0, v1
	v_add_co_ci_u32_e32 v2, vcc_lo, s6, v2, vcc_lo
	v_add_co_u32 v3, s0, s7, v3
	s_delay_alu instid0(VALU_DEP_1) | instskip(NEXT) | instid1(VALU_DEP_4)
	v_add_co_ci_u32_e64 v4, null, s8, 0, s0
	v_add_co_u32 v1, vcc_lo, v1, 4
	s_delay_alu instid0(VALU_DEP_4) | instskip(NEXT) | instid1(VALU_DEP_4)
	v_add_co_ci_u32_e32 v2, vcc_lo, 0, v2, vcc_lo
	v_add_co_u32 v3, vcc_lo, v3, 4
	s_delay_alu instid0(VALU_DEP_4)
	v_add_co_ci_u32_e32 v4, vcc_lo, 0, v4, vcc_lo
	s_mov_b32 s6, 0
	s_mov_b32 s7, 0
	.p2align	6
.LBB1_11:                               ; =>This Inner Loop Header: Depth=1
	global_load_b64 v[12:13], v[1:2], off offset:-4
	global_load_b64 v[14:15], v[3:4], off offset:-4
	s_addk_i32 s7, 0x400
	v_add_co_u32 v1, vcc_lo, v1, s4
	v_add_nc_u32_e32 v11, s7, v0
	v_add_co_ci_u32_e32 v2, vcc_lo, s5, v2, vcc_lo
	s_waitcnt vmcnt(1)
	v_mul_f32_e32 v6, v8, v13
	v_mul_f32_e32 v13, v7, v13
	v_cmp_le_i32_e32 vcc_lo, s14, v11
	s_delay_alu instid0(VALU_DEP_3) | instskip(NEXT) | instid1(VALU_DEP_3)
	v_fma_f32 v6, v7, v12, -v6
	v_fmac_f32_e32 v13, v8, v12
	v_mov_b32_e32 v5, s7
	s_or_b32 s6, vcc_lo, s6
	s_waitcnt vmcnt(0)
	s_delay_alu instid0(VALU_DEP_2) | instskip(SKIP_2) | instid1(VALU_DEP_1)
	v_dual_add_f32 v12, v14, v6 :: v_dual_add_f32 v13, v15, v13
	global_store_b64 v[3:4], v[12:13], off offset:-4
	v_add_co_u32 v3, s0, 0x2000, v3
	v_add_co_ci_u32_e64 v4, s0, 0, v4, s0
	s_and_not1_b32 exec_lo, exec_lo, s6
	s_cbranch_execnz .LBB1_11
; %bb.12:
	s_or_b32 exec_lo, exec_lo, s6
	v_mov_b32_e32 v6, 0
.LBB1_13:
	s_or_b32 exec_lo, exec_lo, s1
	s_delay_alu instid0(SALU_CYCLE_1)
	s_mov_b32 s0, exec_lo
	v_cmpx_eq_u32_e64 s14, v11
	s_cbranch_execz .LBB1_15
; %bb.14:
	v_lshlrev_b64 v[0:1], 3, v[5:6]
	s_load_b64 s[0:1], s[2:3], 0x0
	s_delay_alu instid0(VALU_DEP_1) | instskip(NEXT) | instid1(VALU_DEP_2)
	v_add_co_u32 v0, vcc_lo, v9, v0
	v_add_co_ci_u32_e32 v1, vcc_lo, v10, v1, vcc_lo
	global_load_b32 v2, v[0:1], off
	s_waitcnt lgkmcnt(0)
	v_mul_f32_e32 v3, s1, v8
	s_delay_alu instid0(VALU_DEP_1) | instskip(SKIP_1) | instid1(VALU_DEP_1)
	v_fma_f32 v3, v7, s0, -v3
	s_waitcnt vmcnt(0)
	v_dual_add_f32 v2, v2, v3 :: v_dual_mov_b32 v3, 0
	global_store_b64 v[0:1], v[2:3], off
.LBB1_15:
	s_nop 0
	s_sendmsg sendmsg(MSG_DEALLOC_VGPRS)
	s_endpgm
	.section	.rodata,"a",@progbits
	.p2align	6, 0x0
	.amdhsa_kernel _ZL18rocblas_her_kernelILi1024EfPK19rocblas_complex_numIfEPS1_EvbiT0_T1_lllT2_llli
		.amdhsa_group_segment_fixed_size 0
		.amdhsa_private_segment_fixed_size 0
		.amdhsa_kernarg_size 84
		.amdhsa_user_sgpr_count 14
		.amdhsa_user_sgpr_dispatch_ptr 0
		.amdhsa_user_sgpr_queue_ptr 0
		.amdhsa_user_sgpr_kernarg_segment_ptr 1
		.amdhsa_user_sgpr_dispatch_id 0
		.amdhsa_user_sgpr_private_segment_size 0
		.amdhsa_wavefront_size32 1
		.amdhsa_uses_dynamic_stack 0
		.amdhsa_enable_private_segment 0
		.amdhsa_system_sgpr_workgroup_id_x 1
		.amdhsa_system_sgpr_workgroup_id_y 0
		.amdhsa_system_sgpr_workgroup_id_z 1
		.amdhsa_system_sgpr_workgroup_info 0
		.amdhsa_system_vgpr_workitem_id 0
		.amdhsa_next_free_vgpr 16
		.amdhsa_next_free_sgpr 34
		.amdhsa_reserve_vcc 1
		.amdhsa_float_round_mode_32 0
		.amdhsa_float_round_mode_16_64 0
		.amdhsa_float_denorm_mode_32 3
		.amdhsa_float_denorm_mode_16_64 3
		.amdhsa_dx10_clamp 1
		.amdhsa_ieee_mode 1
		.amdhsa_fp16_overflow 0
		.amdhsa_workgroup_processor_mode 1
		.amdhsa_memory_ordered 1
		.amdhsa_forward_progress 0
		.amdhsa_shared_vgpr_count 0
		.amdhsa_exception_fp_ieee_invalid_op 0
		.amdhsa_exception_fp_denorm_src 0
		.amdhsa_exception_fp_ieee_div_zero 0
		.amdhsa_exception_fp_ieee_overflow 0
		.amdhsa_exception_fp_ieee_underflow 0
		.amdhsa_exception_fp_ieee_inexact 0
		.amdhsa_exception_int_div_zero 0
	.end_amdhsa_kernel
	.section	.text._ZL18rocblas_her_kernelILi1024EfPK19rocblas_complex_numIfEPS1_EvbiT0_T1_lllT2_llli,"axG",@progbits,_ZL18rocblas_her_kernelILi1024EfPK19rocblas_complex_numIfEPS1_EvbiT0_T1_lllT2_llli,comdat
.Lfunc_end1:
	.size	_ZL18rocblas_her_kernelILi1024EfPK19rocblas_complex_numIfEPS1_EvbiT0_T1_lllT2_llli, .Lfunc_end1-_ZL18rocblas_her_kernelILi1024EfPK19rocblas_complex_numIfEPS1_EvbiT0_T1_lllT2_llli
                                        ; -- End function
	.section	.AMDGPU.csdata,"",@progbits
; Kernel info:
; codeLenInByte = 1156
; NumSgprs: 36
; NumVgprs: 16
; ScratchSize: 0
; MemoryBound: 0
; FloatMode: 240
; IeeeMode: 1
; LDSByteSize: 0 bytes/workgroup (compile time only)
; SGPRBlocks: 4
; VGPRBlocks: 1
; NumSGPRsForWavesPerEU: 36
; NumVGPRsForWavesPerEU: 16
; Occupancy: 16
; WaveLimiterHint : 0
; COMPUTE_PGM_RSRC2:SCRATCH_EN: 0
; COMPUTE_PGM_RSRC2:USER_SGPR: 14
; COMPUTE_PGM_RSRC2:TRAP_HANDLER: 0
; COMPUTE_PGM_RSRC2:TGID_X_EN: 1
; COMPUTE_PGM_RSRC2:TGID_Y_EN: 0
; COMPUTE_PGM_RSRC2:TGID_Z_EN: 1
; COMPUTE_PGM_RSRC2:TIDIG_COMP_CNT: 0
	.section	.text._ZL18rocblas_her_kernelILi1024EPKdPK19rocblas_complex_numIdEPS3_EvbiT0_T1_lllT2_llli,"axG",@progbits,_ZL18rocblas_her_kernelILi1024EPKdPK19rocblas_complex_numIdEPS3_EvbiT0_T1_lllT2_llli,comdat
	.globl	_ZL18rocblas_her_kernelILi1024EPKdPK19rocblas_complex_numIdEPS3_EvbiT0_T1_lllT2_llli ; -- Begin function _ZL18rocblas_her_kernelILi1024EPKdPK19rocblas_complex_numIdEPS3_EvbiT0_T1_lllT2_llli
	.p2align	8
	.type	_ZL18rocblas_her_kernelILi1024EPKdPK19rocblas_complex_numIdEPS3_EvbiT0_T1_lllT2_llli,@function
_ZL18rocblas_her_kernelILi1024EPKdPK19rocblas_complex_numIdEPS3_EvbiT0_T1_lllT2_llli: ; @_ZL18rocblas_her_kernelILi1024EPKdPK19rocblas_complex_numIdEPS3_EvbiT0_T1_lllT2_llli
; %bb.0:
	s_load_b512 s[16:31], s[0:1], 0x8
	s_waitcnt lgkmcnt(0)
	s_load_b64 s[34:35], s[16:17], 0x0
	s_waitcnt lgkmcnt(0)
	v_cmp_eq_f64_e64 s2, s[34:35], 0
	s_delay_alu instid0(VALU_DEP_1)
	s_and_b32 vcc_lo, exec_lo, s2
	s_cbranch_vccnz .LBB2_15
; %bb.1:
	s_clause 0x1
	s_load_b64 s[2:3], s[0:1], 0x48
	s_load_b64 s[0:1], s[0:1], 0x0
	s_mul_i32 s5, s15, s25
	s_mul_hi_u32 s6, s15, s24
	s_waitcnt lgkmcnt(0)
	s_mul_i32 s3, s15, s3
	s_mul_hi_u32 s4, s15, s2
	s_mul_i32 s2, s15, s2
	s_add_i32 s3, s4, s3
	s_and_b32 s0, s0, 1
	s_lshl_b64 s[2:3], s[2:3], 4
	s_mul_i32 s4, s15, s24
	s_add_u32 s7, s26, s2
	s_addc_u32 s10, s27, s3
	s_lshl_b64 s[8:9], s[30:31], 4
	v_cmp_gt_i32_e32 vcc_lo, s1, v0
	s_add_u32 s7, s7, s8
	s_addc_u32 s30, s10, s9
	s_add_i32 s5, s6, s5
	s_mul_i32 s6, s14, s29
	s_lshl_b64 s[10:11], s[4:5], 4
	s_mul_hi_u32 s5, s14, s28
	s_add_u32 s15, s18, s10
	s_addc_u32 s16, s19, s11
	s_lshl_b64 s[12:13], s[20:21], 4
	s_mul_i32 s4, s14, s28
	s_add_u32 s24, s15, s12
	s_addc_u32 s25, s16, s13
	s_ashr_i32 s15, s14, 31
	s_add_i32 s5, s5, s6
	s_mul_i32 s6, s15, s28
	s_mul_i32 s20, s14, s23
	s_add_i32 s5, s5, s6
	s_mul_hi_u32 s6, s14, s22
	s_lshl_b64 s[16:17], s[4:5], 4
	s_mul_i32 s5, s15, s22
	s_add_u32 s21, s16, s7
	s_addc_u32 s28, s17, s30
	s_add_i32 s6, s6, s20
	s_mul_i32 s4, s14, s22
	s_add_i32 s5, s6, s5
	v_cndmask_b32_e32 v5, 0, v0, vcc_lo
	s_lshl_b64 s[4:5], s[4:5], 4
	s_delay_alu instid0(SALU_CYCLE_1) | instskip(SKIP_1) | instid1(VALU_DEP_1)
	s_add_u32 s4, s24, s4
	s_addc_u32 s5, s25, s5
	v_lshlrev_b32_e32 v7, 4, v5
	s_load_b128 s[4:7], s[4:5], 0x0
	s_cmp_eq_u32 s0, 0
	s_mov_b32 s0, -1
	s_delay_alu instid0(VALU_DEP_1) | instskip(NEXT) | instid1(VALU_DEP_1)
	v_add_co_u32 v11, s20, s21, v7
	v_add_co_ci_u32_e64 v12, null, s28, 0, s20
	s_waitcnt lgkmcnt(0)
	v_mul_f64 v[1:2], s[6:7], 0
	v_mul_f64 v[3:4], s[34:35], s[6:7]
	s_delay_alu instid0(VALU_DEP_2) | instskip(NEXT) | instid1(VALU_DEP_2)
	v_fma_f64 v[1:2], s[34:35], s[4:5], v[1:2]
	v_fma_f64 v[3:4], s[4:5], 0, -v[3:4]
	s_cbranch_scc0 .LBB2_8
; %bb.2:
	s_mov_b32 s0, exec_lo
	v_cmpx_eq_u32_e32 0, v0
	s_cbranch_execz .LBB2_4
; %bb.3:
	s_lshl_b64 s[20:21], s[14:15], 4
	s_delay_alu instid0(VALU_DEP_2)
	v_mul_f64 v[13:14], s[6:7], v[3:4]
	v_add_co_u32 v5, vcc_lo, v11, s20
	v_add_co_ci_u32_e32 v6, vcc_lo, s21, v12, vcc_lo
	v_mov_b32_e32 v15, 0
	global_load_b64 v[8:9], v[5:6], off
	v_mov_b32_e32 v16, v15
	v_fma_f64 v[13:14], s[4:5], v[1:2], -v[13:14]
	s_waitcnt vmcnt(0)
	s_delay_alu instid0(VALU_DEP_1)
	v_add_f64 v[13:14], v[13:14], v[8:9]
	global_store_b128 v[5:6], v[13:16], off
.LBB2_4:
	s_or_b32 exec_lo, exec_lo, s0
	s_add_i32 s20, s14, 1
	s_mov_b32 s15, exec_lo
	v_add_nc_u32_e32 v8, s20, v0
	s_delay_alu instid0(VALU_DEP_1)
	v_cmpx_gt_i32_e64 s1, v8
	s_cbranch_execz .LBB2_7
; %bb.5:
	s_add_u32 s0, s16, s2
	s_addc_u32 s21, s17, s3
	s_add_u32 s0, s0, s8
	s_addc_u32 s28, s21, s9
	s_ashr_i32 s21, s20, 31
	s_delay_alu instid0(SALU_CYCLE_1) | instskip(NEXT) | instid1(SALU_CYCLE_1)
	s_lshl_b64 s[20:21], s[20:21], 4
	s_add_u32 s0, s0, s20
	s_addc_u32 s20, s28, s21
	s_add_u32 s0, s26, s0
	s_addc_u32 s20, s27, s20
	v_add_co_u32 v5, s0, s0, v7
	s_delay_alu instid0(VALU_DEP_1) | instskip(SKIP_1) | instid1(VALU_DEP_2)
	v_add_co_ci_u32_e64 v6, null, s20, 0, s0
	s_mov_b32 s20, 0
	v_add_co_u32 v5, vcc_lo, v5, 8
	s_delay_alu instid0(VALU_DEP_2)
	v_add_co_ci_u32_e32 v6, vcc_lo, 0, v6, vcc_lo
	s_set_inst_prefetch_distance 0x1
	.p2align	6
.LBB2_6:                                ; =>This Inner Loop Header: Depth=1
	v_ashrrev_i32_e32 v13, 31, v8
	v_mul_lo_u32 v14, v8, s23
	v_mad_u64_u32 v[9:10], null, v8, s22, 0
	v_add_nc_u32_e32 v8, 0x400, v8
	s_delay_alu instid0(VALU_DEP_4) | instskip(NEXT) | instid1(VALU_DEP_1)
	v_mul_lo_u32 v13, v13, s22
	v_add3_u32 v10, v10, v14, v13
	s_delay_alu instid0(VALU_DEP_1) | instskip(NEXT) | instid1(VALU_DEP_1)
	v_lshlrev_b64 v[9:10], 4, v[9:10]
	v_add_co_u32 v9, vcc_lo, s24, v9
	s_delay_alu instid0(VALU_DEP_2)
	v_add_co_ci_u32_e32 v10, vcc_lo, s25, v10, vcc_lo
	v_cmp_le_i32_e32 vcc_lo, s1, v8
	global_load_b128 v[13:16], v[9:10], off
	global_load_b128 v[17:20], v[5:6], off offset:-8
	s_or_b32 s20, vcc_lo, s20
	s_waitcnt vmcnt(1)
	v_mul_f64 v[9:10], v[3:4], v[15:16]
	v_mul_f64 v[15:16], v[1:2], v[15:16]
	s_delay_alu instid0(VALU_DEP_2) | instskip(NEXT) | instid1(VALU_DEP_2)
	v_fma_f64 v[9:10], v[1:2], v[13:14], -v[9:10]
	v_fma_f64 v[15:16], v[3:4], v[13:14], v[15:16]
	s_waitcnt vmcnt(0)
	s_delay_alu instid0(VALU_DEP_2) | instskip(NEXT) | instid1(VALU_DEP_2)
	v_add_f64 v[13:14], v[17:18], v[9:10]
	v_add_f64 v[15:16], v[19:20], v[15:16]
	global_store_b128 v[5:6], v[13:16], off offset:-8
	v_add_co_u32 v5, s0, 0x4000, v5
	s_delay_alu instid0(VALU_DEP_1)
	v_add_co_ci_u32_e64 v6, s0, 0, v6, s0
	s_and_not1_b32 exec_lo, exec_lo, s20
	s_cbranch_execnz .LBB2_6
.LBB2_7:
	s_set_inst_prefetch_distance 0x2
	s_or_b32 exec_lo, exec_lo, s15
	s_mov_b32 s0, 0
.LBB2_8:
	s_delay_alu instid0(SALU_CYCLE_1)
	s_and_b32 vcc_lo, exec_lo, s0
	s_cbranch_vccz .LBB2_15
; %bb.9:
	v_mov_b32_e32 v9, 0
	v_dual_mov_b32 v10, 0 :: v_dual_mov_b32 v13, v0
	s_mov_b32 s1, exec_lo
	v_cmpx_gt_i32_e64 s14, v0
	s_cbranch_execz .LBB2_13
; %bb.10:
	v_mad_u64_u32 v[5:6], null, s22, v0, 0
	s_add_u32 s0, s18, s12
	s_addc_u32 s12, s19, s13
	s_add_u32 s0, s0, s10
	s_addc_u32 s12, s12, s11
	s_lshl_b64 s[10:11], s[22:23], 14
	s_add_u32 s2, s16, s2
	s_delay_alu instid0(VALU_DEP_1)
	v_mad_u64_u32 v[8:9], null, s23, v0, v[6:7]
	s_addc_u32 s3, s17, s3
	s_add_u32 s2, s2, s8
	s_addc_u32 s3, s3, s9
	s_add_u32 s2, s26, s2
	s_addc_u32 s3, s27, s3
	s_delay_alu instid0(VALU_DEP_1) | instskip(NEXT) | instid1(VALU_DEP_1)
	v_mov_b32_e32 v6, v8
	v_lshlrev_b64 v[5:6], 4, v[5:6]
	s_delay_alu instid0(VALU_DEP_1) | instskip(NEXT) | instid1(VALU_DEP_2)
	v_add_co_u32 v5, vcc_lo, s0, v5
	v_add_co_ci_u32_e32 v6, vcc_lo, s12, v6, vcc_lo
	v_add_co_u32 v7, s0, s2, v7
	s_delay_alu instid0(VALU_DEP_1) | instskip(NEXT) | instid1(VALU_DEP_4)
	v_add_co_ci_u32_e64 v8, null, s3, 0, s0
	v_add_co_u32 v5, vcc_lo, v5, 8
	s_delay_alu instid0(VALU_DEP_4) | instskip(NEXT) | instid1(VALU_DEP_4)
	v_add_co_ci_u32_e32 v6, vcc_lo, 0, v6, vcc_lo
	v_add_co_u32 v7, vcc_lo, v7, 8
	s_delay_alu instid0(VALU_DEP_4)
	v_add_co_ci_u32_e32 v8, vcc_lo, 0, v8, vcc_lo
	s_mov_b32 s2, 0
	s_mov_b32 s3, 0
	s_set_inst_prefetch_distance 0x1
	.p2align	6
.LBB2_11:                               ; =>This Inner Loop Header: Depth=1
	global_load_b128 v[13:16], v[5:6], off offset:-8
	global_load_b128 v[17:20], v[7:8], off offset:-8
	s_addk_i32 s3, 0x400
	v_add_co_u32 v5, vcc_lo, v5, s10
	v_add_co_ci_u32_e32 v6, vcc_lo, s11, v6, vcc_lo
	s_waitcnt vmcnt(1)
	v_mul_f64 v[9:10], v[3:4], v[15:16]
	v_mul_f64 v[15:16], v[1:2], v[15:16]
	s_delay_alu instid0(VALU_DEP_2) | instskip(NEXT) | instid1(VALU_DEP_2)
	v_fma_f64 v[9:10], v[1:2], v[13:14], -v[9:10]
	v_fma_f64 v[21:22], v[3:4], v[13:14], v[15:16]
	v_add_nc_u32_e32 v13, s3, v0
	s_delay_alu instid0(VALU_DEP_1) | instskip(SKIP_2) | instid1(VALU_DEP_4)
	v_cmp_le_i32_e32 vcc_lo, s14, v13
	s_or_b32 s2, vcc_lo, s2
	s_waitcnt vmcnt(0)
	v_add_f64 v[14:15], v[17:18], v[9:10]
	s_delay_alu instid0(VALU_DEP_4) | instskip(SKIP_3) | instid1(VALU_DEP_1)
	v_add_f64 v[16:17], v[19:20], v[21:22]
	v_mov_b32_e32 v9, s3
	global_store_b128 v[7:8], v[14:17], off offset:-8
	v_add_co_u32 v7, s0, 0x4000, v7
	v_add_co_ci_u32_e64 v8, s0, 0, v8, s0
	s_and_not1_b32 exec_lo, exec_lo, s2
	s_cbranch_execnz .LBB2_11
; %bb.12:
	s_set_inst_prefetch_distance 0x2
	s_or_b32 exec_lo, exec_lo, s2
	v_mov_b32_e32 v10, 0
.LBB2_13:
	s_or_b32 exec_lo, exec_lo, s1
	s_delay_alu instid0(SALU_CYCLE_1)
	s_mov_b32 s0, exec_lo
	v_cmpx_eq_u32_e64 s14, v13
	s_cbranch_execz .LBB2_15
; %bb.14:
	v_lshlrev_b64 v[5:6], 4, v[9:10]
	v_mul_f64 v[3:4], s[6:7], v[3:4]
	s_delay_alu instid0(VALU_DEP_2) | instskip(NEXT) | instid1(VALU_DEP_3)
	v_add_co_u32 v5, vcc_lo, v11, v5
	v_add_co_ci_u32_e32 v6, vcc_lo, v12, v6, vcc_lo
	global_load_b64 v[7:8], v[5:6], off
	v_fma_f64 v[0:1], s[4:5], v[1:2], -v[3:4]
	v_mov_b32_e32 v2, 0
	s_delay_alu instid0(VALU_DEP_1) | instskip(SKIP_1) | instid1(VALU_DEP_3)
	v_mov_b32_e32 v3, v2
	s_waitcnt vmcnt(0)
	v_add_f64 v[0:1], v[0:1], v[7:8]
	global_store_b128 v[5:6], v[0:3], off
.LBB2_15:
	s_nop 0
	s_sendmsg sendmsg(MSG_DEALLOC_VGPRS)
	s_endpgm
	.section	.rodata,"a",@progbits
	.p2align	6, 0x0
	.amdhsa_kernel _ZL18rocblas_her_kernelILi1024EPKdPK19rocblas_complex_numIdEPS3_EvbiT0_T1_lllT2_llli
		.amdhsa_group_segment_fixed_size 0
		.amdhsa_private_segment_fixed_size 0
		.amdhsa_kernarg_size 84
		.amdhsa_user_sgpr_count 14
		.amdhsa_user_sgpr_dispatch_ptr 0
		.amdhsa_user_sgpr_queue_ptr 0
		.amdhsa_user_sgpr_kernarg_segment_ptr 1
		.amdhsa_user_sgpr_dispatch_id 0
		.amdhsa_user_sgpr_private_segment_size 0
		.amdhsa_wavefront_size32 1
		.amdhsa_uses_dynamic_stack 0
		.amdhsa_enable_private_segment 0
		.amdhsa_system_sgpr_workgroup_id_x 1
		.amdhsa_system_sgpr_workgroup_id_y 0
		.amdhsa_system_sgpr_workgroup_id_z 1
		.amdhsa_system_sgpr_workgroup_info 0
		.amdhsa_system_vgpr_workitem_id 0
		.amdhsa_next_free_vgpr 23
		.amdhsa_next_free_sgpr 36
		.amdhsa_reserve_vcc 1
		.amdhsa_float_round_mode_32 0
		.amdhsa_float_round_mode_16_64 0
		.amdhsa_float_denorm_mode_32 3
		.amdhsa_float_denorm_mode_16_64 3
		.amdhsa_dx10_clamp 1
		.amdhsa_ieee_mode 1
		.amdhsa_fp16_overflow 0
		.amdhsa_workgroup_processor_mode 1
		.amdhsa_memory_ordered 1
		.amdhsa_forward_progress 0
		.amdhsa_shared_vgpr_count 0
		.amdhsa_exception_fp_ieee_invalid_op 0
		.amdhsa_exception_fp_denorm_src 0
		.amdhsa_exception_fp_ieee_div_zero 0
		.amdhsa_exception_fp_ieee_overflow 0
		.amdhsa_exception_fp_ieee_underflow 0
		.amdhsa_exception_fp_ieee_inexact 0
		.amdhsa_exception_int_div_zero 0
	.end_amdhsa_kernel
	.section	.text._ZL18rocblas_her_kernelILi1024EPKdPK19rocblas_complex_numIdEPS3_EvbiT0_T1_lllT2_llli,"axG",@progbits,_ZL18rocblas_her_kernelILi1024EPKdPK19rocblas_complex_numIdEPS3_EvbiT0_T1_lllT2_llli,comdat
.Lfunc_end2:
	.size	_ZL18rocblas_her_kernelILi1024EPKdPK19rocblas_complex_numIdEPS3_EvbiT0_T1_lllT2_llli, .Lfunc_end2-_ZL18rocblas_her_kernelILi1024EPKdPK19rocblas_complex_numIdEPS3_EvbiT0_T1_lllT2_llli
                                        ; -- End function
	.section	.AMDGPU.csdata,"",@progbits
; Kernel info:
; codeLenInByte = 1228
; NumSgprs: 38
; NumVgprs: 23
; ScratchSize: 0
; MemoryBound: 0
; FloatMode: 240
; IeeeMode: 1
; LDSByteSize: 0 bytes/workgroup (compile time only)
; SGPRBlocks: 4
; VGPRBlocks: 2
; NumSGPRsForWavesPerEU: 38
; NumVGPRsForWavesPerEU: 23
; Occupancy: 16
; WaveLimiterHint : 1
; COMPUTE_PGM_RSRC2:SCRATCH_EN: 0
; COMPUTE_PGM_RSRC2:USER_SGPR: 14
; COMPUTE_PGM_RSRC2:TRAP_HANDLER: 0
; COMPUTE_PGM_RSRC2:TGID_X_EN: 1
; COMPUTE_PGM_RSRC2:TGID_Y_EN: 0
; COMPUTE_PGM_RSRC2:TGID_Z_EN: 1
; COMPUTE_PGM_RSRC2:TIDIG_COMP_CNT: 0
	.section	.text._ZL18rocblas_her_kernelILi1024EdPK19rocblas_complex_numIdEPS1_EvbiT0_T1_lllT2_llli,"axG",@progbits,_ZL18rocblas_her_kernelILi1024EdPK19rocblas_complex_numIdEPS1_EvbiT0_T1_lllT2_llli,comdat
	.globl	_ZL18rocblas_her_kernelILi1024EdPK19rocblas_complex_numIdEPS1_EvbiT0_T1_lllT2_llli ; -- Begin function _ZL18rocblas_her_kernelILi1024EdPK19rocblas_complex_numIdEPS1_EvbiT0_T1_lllT2_llli
	.p2align	8
	.type	_ZL18rocblas_her_kernelILi1024EdPK19rocblas_complex_numIdEPS1_EvbiT0_T1_lllT2_llli,@function
_ZL18rocblas_her_kernelILi1024EdPK19rocblas_complex_numIdEPS1_EvbiT0_T1_lllT2_llli: ; @_ZL18rocblas_her_kernelILi1024EdPK19rocblas_complex_numIdEPS1_EvbiT0_T1_lllT2_llli
; %bb.0:
	s_load_b512 s[16:31], s[0:1], 0x8
	s_waitcnt lgkmcnt(0)
	v_cmp_eq_f64_e64 s2, s[16:17], 0
	s_delay_alu instid0(VALU_DEP_1)
	s_and_b32 vcc_lo, exec_lo, s2
	s_cbranch_vccnz .LBB3_15
; %bb.1:
	s_clause 0x1
	s_load_b64 s[2:3], s[0:1], 0x48
	s_load_b64 s[0:1], s[0:1], 0x0
	s_mul_i32 s5, s15, s25
	s_mul_hi_u32 s6, s15, s24
	s_waitcnt lgkmcnt(0)
	s_mul_i32 s3, s15, s3
	s_mul_hi_u32 s4, s15, s2
	s_mul_i32 s2, s15, s2
	s_add_i32 s3, s4, s3
	s_and_b32 s0, s0, 1
	s_lshl_b64 s[2:3], s[2:3], 4
	s_mul_i32 s4, s15, s24
	s_add_u32 s7, s26, s2
	s_addc_u32 s10, s27, s3
	s_lshl_b64 s[8:9], s[30:31], 4
	v_cmp_gt_i32_e32 vcc_lo, s1, v0
	s_add_u32 s7, s7, s8
	s_addc_u32 s30, s10, s9
	s_add_i32 s5, s6, s5
	s_mul_i32 s6, s14, s29
	s_lshl_b64 s[10:11], s[4:5], 4
	s_mul_hi_u32 s5, s14, s28
	s_add_u32 s15, s18, s10
	s_addc_u32 s25, s19, s11
	s_lshl_b64 s[12:13], s[20:21], 4
	s_mul_i32 s4, s14, s28
	s_add_u32 s24, s15, s12
	s_addc_u32 s25, s25, s13
	s_ashr_i32 s15, s14, 31
	s_add_i32 s5, s5, s6
	s_mul_i32 s6, s15, s28
	s_mul_i32 s28, s14, s23
	s_add_i32 s5, s5, s6
	s_mul_hi_u32 s6, s14, s22
	s_lshl_b64 s[20:21], s[4:5], 4
	s_mul_i32 s5, s15, s22
	s_add_u32 s29, s20, s7
	s_addc_u32 s30, s21, s30
	s_add_i32 s6, s6, s28
	s_mul_i32 s4, s14, s22
	s_add_i32 s5, s6, s5
	v_cndmask_b32_e32 v5, 0, v0, vcc_lo
	s_lshl_b64 s[4:5], s[4:5], 4
	s_delay_alu instid0(SALU_CYCLE_1) | instskip(SKIP_1) | instid1(VALU_DEP_1)
	s_add_u32 s4, s24, s4
	s_addc_u32 s5, s25, s5
	v_lshlrev_b32_e32 v7, 4, v5
	s_load_b128 s[4:7], s[4:5], 0x0
	s_cmp_eq_u32 s0, 0
	s_mov_b32 s0, -1
	s_waitcnt lgkmcnt(0)
	v_mul_f64 v[1:2], s[6:7], 0
	v_mul_f64 v[3:4], s[6:7], s[16:17]
	s_delay_alu instid0(VALU_DEP_2) | instskip(NEXT) | instid1(VALU_DEP_2)
	v_fma_f64 v[1:2], s[4:5], s[16:17], v[1:2]
	v_fma_f64 v[3:4], s[4:5], 0, -v[3:4]
	v_add_co_u32 v11, s16, s29, v7
	s_delay_alu instid0(VALU_DEP_1)
	v_add_co_ci_u32_e64 v12, null, s30, 0, s16
	s_cbranch_scc0 .LBB3_8
; %bb.2:
	s_mov_b32 s0, exec_lo
	v_cmpx_eq_u32_e32 0, v0
	s_cbranch_execz .LBB3_4
; %bb.3:
	s_lshl_b64 s[16:17], s[14:15], 4
	s_delay_alu instid0(VALU_DEP_4)
	v_mul_f64 v[13:14], s[6:7], v[3:4]
	v_add_co_u32 v5, vcc_lo, v11, s16
	v_add_co_ci_u32_e32 v6, vcc_lo, s17, v12, vcc_lo
	v_mov_b32_e32 v15, 0
	global_load_b64 v[8:9], v[5:6], off
	v_mov_b32_e32 v16, v15
	v_fma_f64 v[13:14], s[4:5], v[1:2], -v[13:14]
	s_waitcnt vmcnt(0)
	s_delay_alu instid0(VALU_DEP_1)
	v_add_f64 v[13:14], v[13:14], v[8:9]
	global_store_b128 v[5:6], v[13:16], off
.LBB3_4:
	s_or_b32 exec_lo, exec_lo, s0
	s_add_i32 s16, s14, 1
	s_mov_b32 s15, exec_lo
	v_add_nc_u32_e32 v8, s16, v0
	s_delay_alu instid0(VALU_DEP_1)
	v_cmpx_gt_i32_e64 s1, v8
	s_cbranch_execz .LBB3_7
; %bb.5:
	s_add_u32 s0, s20, s2
	s_addc_u32 s17, s21, s3
	s_add_u32 s0, s0, s8
	s_addc_u32 s28, s17, s9
	s_ashr_i32 s17, s16, 31
	s_delay_alu instid0(SALU_CYCLE_1) | instskip(NEXT) | instid1(SALU_CYCLE_1)
	s_lshl_b64 s[16:17], s[16:17], 4
	s_add_u32 s0, s0, s16
	s_addc_u32 s16, s28, s17
	s_add_u32 s0, s26, s0
	s_addc_u32 s16, s27, s16
	v_add_co_u32 v5, s0, s0, v7
	s_delay_alu instid0(VALU_DEP_1) | instskip(SKIP_1) | instid1(VALU_DEP_2)
	v_add_co_ci_u32_e64 v6, null, s16, 0, s0
	s_mov_b32 s16, 0
	v_add_co_u32 v5, vcc_lo, v5, 8
	s_delay_alu instid0(VALU_DEP_2)
	v_add_co_ci_u32_e32 v6, vcc_lo, 0, v6, vcc_lo
	s_set_inst_prefetch_distance 0x1
	.p2align	6
.LBB3_6:                                ; =>This Inner Loop Header: Depth=1
	v_ashrrev_i32_e32 v13, 31, v8
	v_mul_lo_u32 v14, v8, s23
	v_mad_u64_u32 v[9:10], null, v8, s22, 0
	v_add_nc_u32_e32 v8, 0x400, v8
	s_delay_alu instid0(VALU_DEP_4) | instskip(NEXT) | instid1(VALU_DEP_1)
	v_mul_lo_u32 v13, v13, s22
	v_add3_u32 v10, v10, v14, v13
	s_delay_alu instid0(VALU_DEP_1) | instskip(NEXT) | instid1(VALU_DEP_1)
	v_lshlrev_b64 v[9:10], 4, v[9:10]
	v_add_co_u32 v9, vcc_lo, s24, v9
	s_delay_alu instid0(VALU_DEP_2)
	v_add_co_ci_u32_e32 v10, vcc_lo, s25, v10, vcc_lo
	v_cmp_le_i32_e32 vcc_lo, s1, v8
	global_load_b128 v[13:16], v[9:10], off
	global_load_b128 v[17:20], v[5:6], off offset:-8
	s_or_b32 s16, vcc_lo, s16
	s_waitcnt vmcnt(1)
	v_mul_f64 v[9:10], v[3:4], v[15:16]
	v_mul_f64 v[15:16], v[1:2], v[15:16]
	s_delay_alu instid0(VALU_DEP_2) | instskip(NEXT) | instid1(VALU_DEP_2)
	v_fma_f64 v[9:10], v[1:2], v[13:14], -v[9:10]
	v_fma_f64 v[15:16], v[3:4], v[13:14], v[15:16]
	s_waitcnt vmcnt(0)
	s_delay_alu instid0(VALU_DEP_2) | instskip(NEXT) | instid1(VALU_DEP_2)
	v_add_f64 v[13:14], v[17:18], v[9:10]
	v_add_f64 v[15:16], v[19:20], v[15:16]
	global_store_b128 v[5:6], v[13:16], off offset:-8
	v_add_co_u32 v5, s0, 0x4000, v5
	s_delay_alu instid0(VALU_DEP_1)
	v_add_co_ci_u32_e64 v6, s0, 0, v6, s0
	s_and_not1_b32 exec_lo, exec_lo, s16
	s_cbranch_execnz .LBB3_6
.LBB3_7:
	s_set_inst_prefetch_distance 0x2
	s_or_b32 exec_lo, exec_lo, s15
	s_mov_b32 s0, 0
.LBB3_8:
	s_delay_alu instid0(SALU_CYCLE_1)
	s_and_b32 vcc_lo, exec_lo, s0
	s_cbranch_vccz .LBB3_15
; %bb.9:
	v_mov_b32_e32 v9, 0
	v_dual_mov_b32 v10, 0 :: v_dual_mov_b32 v13, v0
	s_mov_b32 s1, exec_lo
	v_cmpx_gt_i32_e64 s14, v0
	s_cbranch_execz .LBB3_13
; %bb.10:
	v_mad_u64_u32 v[5:6], null, s22, v0, 0
	s_add_u32 s0, s18, s12
	s_addc_u32 s12, s19, s13
	s_add_u32 s0, s0, s10
	s_addc_u32 s12, s12, s11
	s_lshl_b64 s[10:11], s[22:23], 14
	s_add_u32 s2, s20, s2
	s_delay_alu instid0(VALU_DEP_1)
	v_mad_u64_u32 v[8:9], null, s23, v0, v[6:7]
	s_addc_u32 s3, s21, s3
	s_add_u32 s2, s2, s8
	s_addc_u32 s3, s3, s9
	s_add_u32 s2, s26, s2
	s_addc_u32 s3, s27, s3
	s_delay_alu instid0(VALU_DEP_1) | instskip(NEXT) | instid1(VALU_DEP_1)
	v_mov_b32_e32 v6, v8
	v_lshlrev_b64 v[5:6], 4, v[5:6]
	s_delay_alu instid0(VALU_DEP_1) | instskip(NEXT) | instid1(VALU_DEP_2)
	v_add_co_u32 v5, vcc_lo, s0, v5
	v_add_co_ci_u32_e32 v6, vcc_lo, s12, v6, vcc_lo
	v_add_co_u32 v7, s0, s2, v7
	s_delay_alu instid0(VALU_DEP_1) | instskip(NEXT) | instid1(VALU_DEP_4)
	v_add_co_ci_u32_e64 v8, null, s3, 0, s0
	v_add_co_u32 v5, vcc_lo, v5, 8
	s_delay_alu instid0(VALU_DEP_4) | instskip(NEXT) | instid1(VALU_DEP_4)
	v_add_co_ci_u32_e32 v6, vcc_lo, 0, v6, vcc_lo
	v_add_co_u32 v7, vcc_lo, v7, 8
	s_delay_alu instid0(VALU_DEP_4)
	v_add_co_ci_u32_e32 v8, vcc_lo, 0, v8, vcc_lo
	s_mov_b32 s2, 0
	s_mov_b32 s3, 0
	s_set_inst_prefetch_distance 0x1
	.p2align	6
.LBB3_11:                               ; =>This Inner Loop Header: Depth=1
	global_load_b128 v[13:16], v[5:6], off offset:-8
	global_load_b128 v[17:20], v[7:8], off offset:-8
	s_addk_i32 s3, 0x400
	v_add_co_u32 v5, vcc_lo, v5, s10
	v_add_co_ci_u32_e32 v6, vcc_lo, s11, v6, vcc_lo
	s_waitcnt vmcnt(1)
	v_mul_f64 v[9:10], v[3:4], v[15:16]
	v_mul_f64 v[15:16], v[1:2], v[15:16]
	s_delay_alu instid0(VALU_DEP_2) | instskip(NEXT) | instid1(VALU_DEP_2)
	v_fma_f64 v[9:10], v[1:2], v[13:14], -v[9:10]
	v_fma_f64 v[21:22], v[3:4], v[13:14], v[15:16]
	v_add_nc_u32_e32 v13, s3, v0
	s_delay_alu instid0(VALU_DEP_1) | instskip(SKIP_2) | instid1(VALU_DEP_4)
	v_cmp_le_i32_e32 vcc_lo, s14, v13
	s_or_b32 s2, vcc_lo, s2
	s_waitcnt vmcnt(0)
	v_add_f64 v[14:15], v[17:18], v[9:10]
	s_delay_alu instid0(VALU_DEP_4) | instskip(SKIP_3) | instid1(VALU_DEP_1)
	v_add_f64 v[16:17], v[19:20], v[21:22]
	v_mov_b32_e32 v9, s3
	global_store_b128 v[7:8], v[14:17], off offset:-8
	v_add_co_u32 v7, s0, 0x4000, v7
	v_add_co_ci_u32_e64 v8, s0, 0, v8, s0
	s_and_not1_b32 exec_lo, exec_lo, s2
	s_cbranch_execnz .LBB3_11
; %bb.12:
	s_set_inst_prefetch_distance 0x2
	s_or_b32 exec_lo, exec_lo, s2
	v_mov_b32_e32 v10, 0
.LBB3_13:
	s_or_b32 exec_lo, exec_lo, s1
	s_delay_alu instid0(SALU_CYCLE_1)
	s_mov_b32 s0, exec_lo
	v_cmpx_eq_u32_e64 s14, v13
	s_cbranch_execz .LBB3_15
; %bb.14:
	v_lshlrev_b64 v[5:6], 4, v[9:10]
	v_mul_f64 v[3:4], s[6:7], v[3:4]
	s_delay_alu instid0(VALU_DEP_2) | instskip(NEXT) | instid1(VALU_DEP_3)
	v_add_co_u32 v5, vcc_lo, v11, v5
	v_add_co_ci_u32_e32 v6, vcc_lo, v12, v6, vcc_lo
	global_load_b64 v[7:8], v[5:6], off
	v_fma_f64 v[0:1], s[4:5], v[1:2], -v[3:4]
	v_mov_b32_e32 v2, 0
	s_delay_alu instid0(VALU_DEP_1) | instskip(SKIP_1) | instid1(VALU_DEP_3)
	v_mov_b32_e32 v3, v2
	s_waitcnt vmcnt(0)
	v_add_f64 v[0:1], v[0:1], v[7:8]
	global_store_b128 v[5:6], v[0:3], off
.LBB3_15:
	s_nop 0
	s_sendmsg sendmsg(MSG_DEALLOC_VGPRS)
	s_endpgm
	.section	.rodata,"a",@progbits
	.p2align	6, 0x0
	.amdhsa_kernel _ZL18rocblas_her_kernelILi1024EdPK19rocblas_complex_numIdEPS1_EvbiT0_T1_lllT2_llli
		.amdhsa_group_segment_fixed_size 0
		.amdhsa_private_segment_fixed_size 0
		.amdhsa_kernarg_size 84
		.amdhsa_user_sgpr_count 14
		.amdhsa_user_sgpr_dispatch_ptr 0
		.amdhsa_user_sgpr_queue_ptr 0
		.amdhsa_user_sgpr_kernarg_segment_ptr 1
		.amdhsa_user_sgpr_dispatch_id 0
		.amdhsa_user_sgpr_private_segment_size 0
		.amdhsa_wavefront_size32 1
		.amdhsa_uses_dynamic_stack 0
		.amdhsa_enable_private_segment 0
		.amdhsa_system_sgpr_workgroup_id_x 1
		.amdhsa_system_sgpr_workgroup_id_y 0
		.amdhsa_system_sgpr_workgroup_id_z 1
		.amdhsa_system_sgpr_workgroup_info 0
		.amdhsa_system_vgpr_workitem_id 0
		.amdhsa_next_free_vgpr 23
		.amdhsa_next_free_sgpr 32
		.amdhsa_reserve_vcc 1
		.amdhsa_float_round_mode_32 0
		.amdhsa_float_round_mode_16_64 0
		.amdhsa_float_denorm_mode_32 3
		.amdhsa_float_denorm_mode_16_64 3
		.amdhsa_dx10_clamp 1
		.amdhsa_ieee_mode 1
		.amdhsa_fp16_overflow 0
		.amdhsa_workgroup_processor_mode 1
		.amdhsa_memory_ordered 1
		.amdhsa_forward_progress 0
		.amdhsa_shared_vgpr_count 0
		.amdhsa_exception_fp_ieee_invalid_op 0
		.amdhsa_exception_fp_denorm_src 0
		.amdhsa_exception_fp_ieee_div_zero 0
		.amdhsa_exception_fp_ieee_overflow 0
		.amdhsa_exception_fp_ieee_underflow 0
		.amdhsa_exception_fp_ieee_inexact 0
		.amdhsa_exception_int_div_zero 0
	.end_amdhsa_kernel
	.section	.text._ZL18rocblas_her_kernelILi1024EdPK19rocblas_complex_numIdEPS1_EvbiT0_T1_lllT2_llli,"axG",@progbits,_ZL18rocblas_her_kernelILi1024EdPK19rocblas_complex_numIdEPS1_EvbiT0_T1_lllT2_llli,comdat
.Lfunc_end3:
	.size	_ZL18rocblas_her_kernelILi1024EdPK19rocblas_complex_numIdEPS1_EvbiT0_T1_lllT2_llli, .Lfunc_end3-_ZL18rocblas_her_kernelILi1024EdPK19rocblas_complex_numIdEPS1_EvbiT0_T1_lllT2_llli
                                        ; -- End function
	.section	.AMDGPU.csdata,"",@progbits
; Kernel info:
; codeLenInByte = 1216
; NumSgprs: 34
; NumVgprs: 23
; ScratchSize: 0
; MemoryBound: 0
; FloatMode: 240
; IeeeMode: 1
; LDSByteSize: 0 bytes/workgroup (compile time only)
; SGPRBlocks: 4
; VGPRBlocks: 2
; NumSGPRsForWavesPerEU: 34
; NumVGPRsForWavesPerEU: 23
; Occupancy: 16
; WaveLimiterHint : 1
; COMPUTE_PGM_RSRC2:SCRATCH_EN: 0
; COMPUTE_PGM_RSRC2:USER_SGPR: 14
; COMPUTE_PGM_RSRC2:TRAP_HANDLER: 0
; COMPUTE_PGM_RSRC2:TGID_X_EN: 1
; COMPUTE_PGM_RSRC2:TGID_Y_EN: 0
; COMPUTE_PGM_RSRC2:TGID_Z_EN: 1
; COMPUTE_PGM_RSRC2:TIDIG_COMP_CNT: 0
	.section	.text._ZL18rocblas_her_kernelILi1024EPKfPKPK19rocblas_complex_numIfEPKPS3_EvbiT0_T1_lllT2_llli,"axG",@progbits,_ZL18rocblas_her_kernelILi1024EPKfPKPK19rocblas_complex_numIfEPKPS3_EvbiT0_T1_lllT2_llli,comdat
	.globl	_ZL18rocblas_her_kernelILi1024EPKfPKPK19rocblas_complex_numIfEPKPS3_EvbiT0_T1_lllT2_llli ; -- Begin function _ZL18rocblas_her_kernelILi1024EPKfPKPK19rocblas_complex_numIfEPKPS3_EvbiT0_T1_lllT2_llli
	.p2align	8
	.type	_ZL18rocblas_her_kernelILi1024EPKfPKPK19rocblas_complex_numIfEPKPS3_EvbiT0_T1_lllT2_llli,@function
_ZL18rocblas_her_kernelILi1024EPKfPKPK19rocblas_complex_numIfEPKPS3_EvbiT0_T1_lllT2_llli: ; @_ZL18rocblas_her_kernelILi1024EPKfPKPK19rocblas_complex_numIfEPKPS3_EvbiT0_T1_lllT2_llli
; %bb.0:
	s_load_b256 s[4:11], s[0:1], 0x8
	s_waitcnt lgkmcnt(0)
	s_load_b32 s22, s[4:5], 0x0
	s_waitcnt lgkmcnt(0)
	v_cmp_eq_f32_e64 s3, s22, 0
	s_delay_alu instid0(VALU_DEP_1)
	s_and_b32 vcc_lo, exec_lo, s3
	s_mov_b32 s3, 0
	s_cbranch_vccnz .LBB4_15
; %bb.1:
	s_clause 0x2
	s_load_b64 s[20:21], s[0:1], 0x0
	s_load_b128 s[16:19], s[0:1], 0x30
	s_load_b64 s[0:1], s[0:1], 0x40
	s_mov_b32 s2, s15
	s_delay_alu instid0(SALU_CYCLE_1)
	s_lshl_b64 s[2:3], s[2:3], 3
	s_waitcnt lgkmcnt(0)
	s_and_b32 s23, s20, 1
	s_add_u32 s4, s16, s2
	s_addc_u32 s5, s17, s3
	s_lshl_b64 s[12:13], s[0:1], 3
	s_load_b64 s[4:5], s[4:5], 0x0
	v_cmp_gt_i32_e32 vcc_lo, s21, v0
	v_cndmask_b32_e32 v1, 0, v0, vcc_lo
	s_delay_alu instid0(VALU_DEP_1)
	v_lshlrev_b32_e32 v3, 3, v1
	s_waitcnt lgkmcnt(0)
	s_add_u32 s24, s4, s12
	s_addc_u32 s25, s5, s13
	s_add_u32 s0, s6, s2
	s_addc_u32 s1, s7, s3
	s_lshl_b64 s[8:9], s[8:9], 3
	s_load_b64 s[6:7], s[0:1], 0x0
	s_mul_i32 s0, s14, s19
	s_mul_hi_u32 s1, s14, s18
	s_mul_i32 s2, s14, s11
	s_waitcnt lgkmcnt(0)
	s_add_u32 s19, s6, s8
	s_addc_u32 s20, s7, s9
	s_ashr_i32 s15, s14, 31
	s_add_i32 s1, s1, s0
	s_mul_i32 s3, s15, s18
	s_mul_i32 s0, s14, s18
	s_add_i32 s1, s1, s3
	s_mul_hi_u32 s3, s14, s10
	s_lshl_b64 s[16:17], s[0:1], 3
	s_mul_i32 s1, s15, s10
	s_add_u32 s18, s16, s24
	s_addc_u32 s24, s17, s25
	s_add_i32 s2, s3, s2
	s_mul_i32 s0, s14, s10
	s_add_i32 s1, s2, s1
	s_delay_alu instid0(SALU_CYCLE_1) | instskip(NEXT) | instid1(SALU_CYCLE_1)
	s_lshl_b64 s[0:1], s[0:1], 3
	s_add_u32 s2, s19, s0
	s_addc_u32 s3, s20, s1
	s_cmp_eq_u32 s23, 0
	s_load_b64 s[0:1], s[2:3], 0x0
	s_waitcnt lgkmcnt(0)
	v_mul_f32_e64 v7, s1, 0
	v_mul_f32_e64 v1, s22, s1
	v_add_co_u32 v9, s1, s18, v3
	s_delay_alu instid0(VALU_DEP_1) | instskip(NEXT) | instid1(VALU_DEP_4)
	v_add_co_ci_u32_e64 v10, null, s24, 0, s1
	v_fmac_f32_e64 v7, s22, s0
	s_delay_alu instid0(VALU_DEP_4)
	v_fma_f32 v8, s0, 0, -v1
	s_mov_b32 s0, -1
	s_cbranch_scc0 .LBB4_8
; %bb.2:
	s_mov_b32 s0, exec_lo
	v_cmpx_eq_u32_e32 0, v0
	s_cbranch_execz .LBB4_4
; %bb.3:
	s_lshl_b64 s[22:23], s[14:15], 3
	s_delay_alu instid0(SALU_CYCLE_1)
	v_add_co_u32 v1, vcc_lo, v9, s22
	v_add_co_ci_u32_e32 v2, vcc_lo, s23, v10, vcc_lo
	s_load_b64 s[22:23], s[2:3], 0x0
	global_load_b32 v4, v[1:2], off
	s_waitcnt lgkmcnt(0)
	v_mul_f32_e32 v5, s23, v8
	s_delay_alu instid0(VALU_DEP_1) | instskip(SKIP_1) | instid1(VALU_DEP_1)
	v_fma_f32 v5, v7, s22, -v5
	s_waitcnt vmcnt(0)
	v_dual_add_f32 v4, v4, v5 :: v_dual_mov_b32 v5, 0
	global_store_b64 v[1:2], v[4:5], off
.LBB4_4:
	s_or_b32 exec_lo, exec_lo, s0
	s_add_i32 s0, s14, 1
	s_mov_b32 s15, exec_lo
	v_add_nc_u32_e32 v4, s0, v0
	s_delay_alu instid0(VALU_DEP_1)
	v_cmpx_gt_i32_e64 s21, v4
	s_cbranch_execz .LBB4_7
; %bb.5:
	s_add_u32 s18, s16, s12
	s_addc_u32 s22, s17, s13
	s_ashr_i32 s1, s0, 31
	s_delay_alu instid0(SALU_CYCLE_1) | instskip(NEXT) | instid1(SALU_CYCLE_1)
	s_lshl_b64 s[0:1], s[0:1], 3
	s_add_u32 s0, s18, s0
	s_addc_u32 s1, s22, s1
	s_add_u32 s0, s4, s0
	s_addc_u32 s1, s5, s1
	v_add_co_u32 v1, s0, s0, v3
	s_delay_alu instid0(VALU_DEP_1) | instskip(SKIP_1) | instid1(VALU_DEP_2)
	v_add_co_ci_u32_e64 v2, null, s1, 0, s0
	s_mov_b32 s1, 0
	v_add_co_u32 v1, vcc_lo, v1, 4
	s_delay_alu instid0(VALU_DEP_2)
	v_add_co_ci_u32_e32 v2, vcc_lo, 0, v2, vcc_lo
	s_set_inst_prefetch_distance 0x1
	.p2align	6
.LBB4_6:                                ; =>This Inner Loop Header: Depth=1
	v_ashrrev_i32_e32 v11, 31, v4
	v_mul_lo_u32 v12, v4, s11
	v_mad_u64_u32 v[5:6], null, v4, s10, 0
	s_delay_alu instid0(VALU_DEP_3) | instskip(NEXT) | instid1(VALU_DEP_1)
	v_mul_lo_u32 v11, v11, s10
	v_add3_u32 v6, v6, v12, v11
	s_delay_alu instid0(VALU_DEP_1) | instskip(NEXT) | instid1(VALU_DEP_1)
	v_lshlrev_b64 v[5:6], 3, v[5:6]
	v_add_co_u32 v5, vcc_lo, s19, v5
	s_delay_alu instid0(VALU_DEP_2)
	v_add_co_ci_u32_e32 v6, vcc_lo, s20, v6, vcc_lo
	global_load_b64 v[5:6], v[5:6], off
	global_load_b64 v[11:12], v[1:2], off offset:-4
	s_waitcnt vmcnt(1)
	v_dual_mul_f32 v13, v8, v6 :: v_dual_add_nc_u32 v4, 0x400, v4
	v_mul_f32_e32 v6, v7, v6
	s_delay_alu instid0(VALU_DEP_2) | instskip(NEXT) | instid1(VALU_DEP_3)
	v_cmp_le_i32_e32 vcc_lo, s21, v4
	v_fma_f32 v13, v7, v5, -v13
	s_delay_alu instid0(VALU_DEP_3) | instskip(SKIP_2) | instid1(VALU_DEP_1)
	v_fmac_f32_e32 v6, v8, v5
	s_or_b32 s1, vcc_lo, s1
	s_waitcnt vmcnt(0)
	v_dual_add_f32 v5, v11, v13 :: v_dual_add_f32 v6, v12, v6
	global_store_b64 v[1:2], v[5:6], off offset:-4
	v_add_co_u32 v1, s0, 0x2000, v1
	s_delay_alu instid0(VALU_DEP_1)
	v_add_co_ci_u32_e64 v2, s0, 0, v2, s0
	s_and_not1_b32 exec_lo, exec_lo, s1
	s_cbranch_execnz .LBB4_6
.LBB4_7:
	s_set_inst_prefetch_distance 0x2
	s_or_b32 exec_lo, exec_lo, s15
	s_mov_b32 s0, 0
.LBB4_8:
	s_delay_alu instid0(SALU_CYCLE_1)
	s_and_b32 vcc_lo, exec_lo, s0
	s_cbranch_vccz .LBB4_15
; %bb.9:
	v_mov_b32_e32 v5, 0
	v_dual_mov_b32 v6, 0 :: v_dual_mov_b32 v11, v0
	s_mov_b32 s1, exec_lo
	v_cmpx_gt_i32_e64 s14, v0
	s_cbranch_execz .LBB4_13
; %bb.10:
	v_mad_u64_u32 v[1:2], null, s10, v0, 0
	s_add_u32 s0, s6, s8
	s_addc_u32 s8, s7, s9
	s_lshl_b64 s[6:7], s[10:11], 13
	s_add_u32 s9, s16, s12
	s_addc_u32 s10, s17, s13
	s_add_u32 s4, s4, s9
	s_delay_alu instid0(VALU_DEP_1) | instskip(SKIP_1) | instid1(VALU_DEP_1)
	v_mad_u64_u32 v[4:5], null, s11, v0, v[2:3]
	s_addc_u32 s5, s5, s10
	v_mov_b32_e32 v2, v4
	s_delay_alu instid0(VALU_DEP_1) | instskip(NEXT) | instid1(VALU_DEP_1)
	v_lshlrev_b64 v[1:2], 3, v[1:2]
	v_add_co_u32 v1, vcc_lo, s0, v1
	s_delay_alu instid0(VALU_DEP_2) | instskip(SKIP_1) | instid1(VALU_DEP_1)
	v_add_co_ci_u32_e32 v2, vcc_lo, s8, v2, vcc_lo
	v_add_co_u32 v3, s0, s4, v3
	v_add_co_ci_u32_e64 v4, null, s5, 0, s0
	s_delay_alu instid0(VALU_DEP_4) | instskip(NEXT) | instid1(VALU_DEP_4)
	v_add_co_u32 v1, vcc_lo, v1, 4
	v_add_co_ci_u32_e32 v2, vcc_lo, 0, v2, vcc_lo
	s_delay_alu instid0(VALU_DEP_4) | instskip(NEXT) | instid1(VALU_DEP_4)
	v_add_co_u32 v3, vcc_lo, v3, 4
	v_add_co_ci_u32_e32 v4, vcc_lo, 0, v4, vcc_lo
	s_mov_b32 s4, 0
	s_mov_b32 s5, 0
	.p2align	6
.LBB4_11:                               ; =>This Inner Loop Header: Depth=1
	global_load_b64 v[12:13], v[1:2], off offset:-4
	global_load_b64 v[14:15], v[3:4], off offset:-4
	s_addk_i32 s5, 0x400
	v_add_co_u32 v1, vcc_lo, v1, s6
	v_add_nc_u32_e32 v11, s5, v0
	v_add_co_ci_u32_e32 v2, vcc_lo, s7, v2, vcc_lo
	s_waitcnt vmcnt(1)
	v_mul_f32_e32 v6, v8, v13
	v_mul_f32_e32 v13, v7, v13
	v_cmp_le_i32_e32 vcc_lo, s14, v11
	s_delay_alu instid0(VALU_DEP_3) | instskip(NEXT) | instid1(VALU_DEP_3)
	v_fma_f32 v6, v7, v12, -v6
	v_fmac_f32_e32 v13, v8, v12
	v_mov_b32_e32 v5, s5
	s_or_b32 s4, vcc_lo, s4
	s_waitcnt vmcnt(0)
	s_delay_alu instid0(VALU_DEP_2) | instskip(SKIP_2) | instid1(VALU_DEP_1)
	v_dual_add_f32 v12, v14, v6 :: v_dual_add_f32 v13, v15, v13
	global_store_b64 v[3:4], v[12:13], off offset:-4
	v_add_co_u32 v3, s0, 0x2000, v3
	v_add_co_ci_u32_e64 v4, s0, 0, v4, s0
	s_and_not1_b32 exec_lo, exec_lo, s4
	s_cbranch_execnz .LBB4_11
; %bb.12:
	s_or_b32 exec_lo, exec_lo, s4
	v_mov_b32_e32 v6, 0
.LBB4_13:
	s_or_b32 exec_lo, exec_lo, s1
	s_delay_alu instid0(SALU_CYCLE_1)
	s_mov_b32 s0, exec_lo
	v_cmpx_eq_u32_e64 s14, v11
	s_cbranch_execz .LBB4_15
; %bb.14:
	v_lshlrev_b64 v[0:1], 3, v[5:6]
	s_load_b64 s[0:1], s[2:3], 0x0
	s_delay_alu instid0(VALU_DEP_1) | instskip(NEXT) | instid1(VALU_DEP_2)
	v_add_co_u32 v0, vcc_lo, v9, v0
	v_add_co_ci_u32_e32 v1, vcc_lo, v10, v1, vcc_lo
	global_load_b32 v2, v[0:1], off
	s_waitcnt lgkmcnt(0)
	v_mul_f32_e32 v3, s1, v8
	s_delay_alu instid0(VALU_DEP_1) | instskip(SKIP_1) | instid1(VALU_DEP_1)
	v_fma_f32 v3, v7, s0, -v3
	s_waitcnt vmcnt(0)
	v_dual_add_f32 v2, v2, v3 :: v_dual_mov_b32 v3, 0
	global_store_b64 v[0:1], v[2:3], off
.LBB4_15:
	s_nop 0
	s_sendmsg sendmsg(MSG_DEALLOC_VGPRS)
	s_endpgm
	.section	.rodata,"a",@progbits
	.p2align	6, 0x0
	.amdhsa_kernel _ZL18rocblas_her_kernelILi1024EPKfPKPK19rocblas_complex_numIfEPKPS3_EvbiT0_T1_lllT2_llli
		.amdhsa_group_segment_fixed_size 0
		.amdhsa_private_segment_fixed_size 0
		.amdhsa_kernarg_size 84
		.amdhsa_user_sgpr_count 14
		.amdhsa_user_sgpr_dispatch_ptr 0
		.amdhsa_user_sgpr_queue_ptr 0
		.amdhsa_user_sgpr_kernarg_segment_ptr 1
		.amdhsa_user_sgpr_dispatch_id 0
		.amdhsa_user_sgpr_private_segment_size 0
		.amdhsa_wavefront_size32 1
		.amdhsa_uses_dynamic_stack 0
		.amdhsa_enable_private_segment 0
		.amdhsa_system_sgpr_workgroup_id_x 1
		.amdhsa_system_sgpr_workgroup_id_y 0
		.amdhsa_system_sgpr_workgroup_id_z 1
		.amdhsa_system_sgpr_workgroup_info 0
		.amdhsa_system_vgpr_workitem_id 0
		.amdhsa_next_free_vgpr 16
		.amdhsa_next_free_sgpr 26
		.amdhsa_reserve_vcc 1
		.amdhsa_float_round_mode_32 0
		.amdhsa_float_round_mode_16_64 0
		.amdhsa_float_denorm_mode_32 3
		.amdhsa_float_denorm_mode_16_64 3
		.amdhsa_dx10_clamp 1
		.amdhsa_ieee_mode 1
		.amdhsa_fp16_overflow 0
		.amdhsa_workgroup_processor_mode 1
		.amdhsa_memory_ordered 1
		.amdhsa_forward_progress 0
		.amdhsa_shared_vgpr_count 0
		.amdhsa_exception_fp_ieee_invalid_op 0
		.amdhsa_exception_fp_denorm_src 0
		.amdhsa_exception_fp_ieee_div_zero 0
		.amdhsa_exception_fp_ieee_overflow 0
		.amdhsa_exception_fp_ieee_underflow 0
		.amdhsa_exception_fp_ieee_inexact 0
		.amdhsa_exception_int_div_zero 0
	.end_amdhsa_kernel
	.section	.text._ZL18rocblas_her_kernelILi1024EPKfPKPK19rocblas_complex_numIfEPKPS3_EvbiT0_T1_lllT2_llli,"axG",@progbits,_ZL18rocblas_her_kernelILi1024EPKfPKPK19rocblas_complex_numIfEPKPS3_EvbiT0_T1_lllT2_llli,comdat
.Lfunc_end4:
	.size	_ZL18rocblas_her_kernelILi1024EPKfPKPK19rocblas_complex_numIfEPKPS3_EvbiT0_T1_lllT2_llli, .Lfunc_end4-_ZL18rocblas_her_kernelILi1024EPKfPKPK19rocblas_complex_numIfEPKPS3_EvbiT0_T1_lllT2_llli
                                        ; -- End function
	.section	.AMDGPU.csdata,"",@progbits
; Kernel info:
; codeLenInByte = 1160
; NumSgprs: 28
; NumVgprs: 16
; ScratchSize: 0
; MemoryBound: 0
; FloatMode: 240
; IeeeMode: 1
; LDSByteSize: 0 bytes/workgroup (compile time only)
; SGPRBlocks: 3
; VGPRBlocks: 1
; NumSGPRsForWavesPerEU: 28
; NumVGPRsForWavesPerEU: 16
; Occupancy: 16
; WaveLimiterHint : 1
; COMPUTE_PGM_RSRC2:SCRATCH_EN: 0
; COMPUTE_PGM_RSRC2:USER_SGPR: 14
; COMPUTE_PGM_RSRC2:TRAP_HANDLER: 0
; COMPUTE_PGM_RSRC2:TGID_X_EN: 1
; COMPUTE_PGM_RSRC2:TGID_Y_EN: 0
; COMPUTE_PGM_RSRC2:TGID_Z_EN: 1
; COMPUTE_PGM_RSRC2:TIDIG_COMP_CNT: 0
	.section	.text._ZL18rocblas_her_kernelILi1024EfPKPK19rocblas_complex_numIfEPKPS1_EvbiT0_T1_lllT2_llli,"axG",@progbits,_ZL18rocblas_her_kernelILi1024EfPKPK19rocblas_complex_numIfEPKPS1_EvbiT0_T1_lllT2_llli,comdat
	.globl	_ZL18rocblas_her_kernelILi1024EfPKPK19rocblas_complex_numIfEPKPS1_EvbiT0_T1_lllT2_llli ; -- Begin function _ZL18rocblas_her_kernelILi1024EfPKPK19rocblas_complex_numIfEPKPS1_EvbiT0_T1_lllT2_llli
	.p2align	8
	.type	_ZL18rocblas_her_kernelILi1024EfPKPK19rocblas_complex_numIfEPKPS1_EvbiT0_T1_lllT2_llli,@function
_ZL18rocblas_her_kernelILi1024EfPKPK19rocblas_complex_numIfEPKPS1_EvbiT0_T1_lllT2_llli: ; @_ZL18rocblas_her_kernelILi1024EfPKPK19rocblas_complex_numIfEPKPS1_EvbiT0_T1_lllT2_llli
; %bb.0:
	s_load_b128 s[4:7], s[0:1], 0x0
	s_waitcnt lgkmcnt(0)
	v_cmp_eq_f32_e64 s3, s6, 0
	s_delay_alu instid0(VALU_DEP_1)
	s_and_b32 vcc_lo, exec_lo, s3
	s_mov_b32 s3, 0
	s_cbranch_vccnz .LBB5_15
; %bb.1:
	s_clause 0x1
	s_load_b128 s[20:23], s[0:1], 0x30
	s_load_b64 s[12:13], s[0:1], 0x20
	s_mov_b32 s2, s15
	s_and_b32 s24, s4, 1
	s_lshl_b64 s[2:3], s[2:3], 3
	s_load_b64 s[10:11], s[0:1], 0x40
	v_cmp_gt_i32_e32 vcc_lo, s5, v0
	v_cndmask_b32_e32 v1, 0, v0, vcc_lo
	s_delay_alu instid0(VALU_DEP_1)
	v_lshlrev_b32_e32 v3, 3, v1
	s_waitcnt lgkmcnt(0)
	s_add_u32 s8, s20, s2
	s_addc_u32 s9, s21, s3
	s_load_b64 s[8:9], s[8:9], 0x0
	s_load_b128 s[16:19], s[0:1], 0x10
	s_lshl_b64 s[10:11], s[10:11], 3
	s_waitcnt lgkmcnt(0)
	s_add_u32 s25, s8, s10
	s_addc_u32 s26, s9, s11
	s_add_u32 s0, s16, s2
	s_addc_u32 s1, s17, s3
	s_lshl_b64 s[18:19], s[18:19], 3
	s_load_b64 s[16:17], s[0:1], 0x0
	s_mul_i32 s1, s14, s23
	s_mul_hi_u32 s2, s14, s22
	s_mul_i32 s0, s14, s22
	s_mul_i32 s3, s14, s13
	s_waitcnt lgkmcnt(0)
	s_add_u32 s4, s16, s18
	s_addc_u32 s7, s17, s19
	s_ashr_i32 s15, s14, 31
	s_add_i32 s1, s2, s1
	s_mul_i32 s2, s15, s22
	s_delay_alu instid0(SALU_CYCLE_1)
	s_add_i32 s1, s1, s2
	s_mul_hi_u32 s2, s14, s12
	s_lshl_b64 s[20:21], s[0:1], 3
	s_mul_i32 s1, s15, s12
	s_add_u32 s22, s20, s25
	s_addc_u32 s23, s21, s26
	s_add_i32 s2, s2, s3
	s_mul_i32 s0, s14, s12
	s_add_i32 s1, s2, s1
	s_delay_alu instid0(SALU_CYCLE_1) | instskip(NEXT) | instid1(SALU_CYCLE_1)
	s_lshl_b64 s[0:1], s[0:1], 3
	s_add_u32 s2, s4, s0
	s_addc_u32 s3, s7, s1
	s_cmp_eq_u32 s24, 0
	s_load_b64 s[0:1], s[2:3], 0x0
	s_waitcnt lgkmcnt(0)
	v_mul_f32_e64 v7, s1, 0
	v_mul_f32_e64 v1, s1, s6
	v_add_co_u32 v9, s1, s22, v3
	s_delay_alu instid0(VALU_DEP_1) | instskip(NEXT) | instid1(VALU_DEP_4)
	v_add_co_ci_u32_e64 v10, null, s23, 0, s1
	v_fmac_f32_e64 v7, s0, s6
	s_delay_alu instid0(VALU_DEP_4)
	v_fma_f32 v8, s0, 0, -v1
	s_mov_b32 s0, -1
	s_cbranch_scc0 .LBB5_8
; %bb.2:
	s_mov_b32 s0, exec_lo
	v_cmpx_eq_u32_e32 0, v0
	s_cbranch_execz .LBB5_4
; %bb.3:
	s_lshl_b64 s[22:23], s[14:15], 3
	s_delay_alu instid0(SALU_CYCLE_1)
	v_add_co_u32 v1, vcc_lo, v9, s22
	v_add_co_ci_u32_e32 v2, vcc_lo, s23, v10, vcc_lo
	s_load_b64 s[22:23], s[2:3], 0x0
	global_load_b32 v4, v[1:2], off
	s_waitcnt lgkmcnt(0)
	v_mul_f32_e32 v5, s23, v8
	s_delay_alu instid0(VALU_DEP_1) | instskip(SKIP_1) | instid1(VALU_DEP_1)
	v_fma_f32 v5, v7, s22, -v5
	s_waitcnt vmcnt(0)
	v_dual_add_f32 v4, v4, v5 :: v_dual_mov_b32 v5, 0
	global_store_b64 v[1:2], v[4:5], off
.LBB5_4:
	s_or_b32 exec_lo, exec_lo, s0
	s_add_i32 s0, s14, 1
	s_mov_b32 s6, exec_lo
	v_add_nc_u32_e32 v4, s0, v0
	s_delay_alu instid0(VALU_DEP_1)
	v_cmpx_gt_i32_e64 s5, v4
	s_cbranch_execz .LBB5_7
; %bb.5:
	s_add_u32 s15, s20, s10
	s_addc_u32 s22, s21, s11
	s_ashr_i32 s1, s0, 31
	s_delay_alu instid0(SALU_CYCLE_1) | instskip(NEXT) | instid1(SALU_CYCLE_1)
	s_lshl_b64 s[0:1], s[0:1], 3
	s_add_u32 s0, s15, s0
	s_addc_u32 s1, s22, s1
	s_add_u32 s0, s8, s0
	s_addc_u32 s1, s9, s1
	v_add_co_u32 v1, s0, s0, v3
	s_delay_alu instid0(VALU_DEP_1) | instskip(SKIP_1) | instid1(VALU_DEP_2)
	v_add_co_ci_u32_e64 v2, null, s1, 0, s0
	s_mov_b32 s1, 0
	v_add_co_u32 v1, vcc_lo, v1, 4
	s_delay_alu instid0(VALU_DEP_2)
	v_add_co_ci_u32_e32 v2, vcc_lo, 0, v2, vcc_lo
	s_set_inst_prefetch_distance 0x1
	.p2align	6
.LBB5_6:                                ; =>This Inner Loop Header: Depth=1
	v_ashrrev_i32_e32 v11, 31, v4
	v_mul_lo_u32 v12, v4, s13
	v_mad_u64_u32 v[5:6], null, v4, s12, 0
	s_delay_alu instid0(VALU_DEP_3) | instskip(NEXT) | instid1(VALU_DEP_1)
	v_mul_lo_u32 v11, v11, s12
	v_add3_u32 v6, v6, v12, v11
	s_delay_alu instid0(VALU_DEP_1) | instskip(NEXT) | instid1(VALU_DEP_1)
	v_lshlrev_b64 v[5:6], 3, v[5:6]
	v_add_co_u32 v5, vcc_lo, s4, v5
	s_delay_alu instid0(VALU_DEP_2)
	v_add_co_ci_u32_e32 v6, vcc_lo, s7, v6, vcc_lo
	global_load_b64 v[5:6], v[5:6], off
	global_load_b64 v[11:12], v[1:2], off offset:-4
	s_waitcnt vmcnt(1)
	v_dual_mul_f32 v13, v8, v6 :: v_dual_add_nc_u32 v4, 0x400, v4
	v_mul_f32_e32 v6, v7, v6
	s_delay_alu instid0(VALU_DEP_2) | instskip(NEXT) | instid1(VALU_DEP_3)
	v_cmp_le_i32_e32 vcc_lo, s5, v4
	v_fma_f32 v13, v7, v5, -v13
	s_delay_alu instid0(VALU_DEP_3) | instskip(SKIP_2) | instid1(VALU_DEP_1)
	v_fmac_f32_e32 v6, v8, v5
	s_or_b32 s1, vcc_lo, s1
	s_waitcnt vmcnt(0)
	v_dual_add_f32 v5, v11, v13 :: v_dual_add_f32 v6, v12, v6
	global_store_b64 v[1:2], v[5:6], off offset:-4
	v_add_co_u32 v1, s0, 0x2000, v1
	s_delay_alu instid0(VALU_DEP_1)
	v_add_co_ci_u32_e64 v2, s0, 0, v2, s0
	s_and_not1_b32 exec_lo, exec_lo, s1
	s_cbranch_execnz .LBB5_6
.LBB5_7:
	s_set_inst_prefetch_distance 0x2
	s_or_b32 exec_lo, exec_lo, s6
	s_mov_b32 s0, 0
.LBB5_8:
	s_delay_alu instid0(SALU_CYCLE_1)
	s_and_b32 vcc_lo, exec_lo, s0
	s_cbranch_vccz .LBB5_15
; %bb.9:
	v_mov_b32_e32 v5, 0
	v_dual_mov_b32 v6, 0 :: v_dual_mov_b32 v11, v0
	s_mov_b32 s1, exec_lo
	v_cmpx_gt_i32_e64 s14, v0
	s_cbranch_execz .LBB5_13
; %bb.10:
	v_mad_u64_u32 v[1:2], null, s12, v0, 0
	s_add_u32 s0, s16, s18
	s_addc_u32 s6, s17, s19
	s_lshl_b64 s[4:5], s[12:13], 13
	s_add_u32 s7, s20, s10
	s_addc_u32 s10, s21, s11
	s_add_u32 s7, s8, s7
	s_delay_alu instid0(VALU_DEP_1) | instskip(SKIP_1) | instid1(VALU_DEP_1)
	v_mad_u64_u32 v[4:5], null, s13, v0, v[2:3]
	s_addc_u32 s8, s9, s10
	v_mov_b32_e32 v2, v4
	s_delay_alu instid0(VALU_DEP_1) | instskip(NEXT) | instid1(VALU_DEP_1)
	v_lshlrev_b64 v[1:2], 3, v[1:2]
	v_add_co_u32 v1, vcc_lo, s0, v1
	s_delay_alu instid0(VALU_DEP_2) | instskip(SKIP_1) | instid1(VALU_DEP_1)
	v_add_co_ci_u32_e32 v2, vcc_lo, s6, v2, vcc_lo
	v_add_co_u32 v3, s0, s7, v3
	v_add_co_ci_u32_e64 v4, null, s8, 0, s0
	s_delay_alu instid0(VALU_DEP_4) | instskip(NEXT) | instid1(VALU_DEP_4)
	v_add_co_u32 v1, vcc_lo, v1, 4
	v_add_co_ci_u32_e32 v2, vcc_lo, 0, v2, vcc_lo
	s_delay_alu instid0(VALU_DEP_4) | instskip(NEXT) | instid1(VALU_DEP_4)
	v_add_co_u32 v3, vcc_lo, v3, 4
	v_add_co_ci_u32_e32 v4, vcc_lo, 0, v4, vcc_lo
	s_mov_b32 s6, 0
	s_mov_b32 s7, 0
	.p2align	6
.LBB5_11:                               ; =>This Inner Loop Header: Depth=1
	global_load_b64 v[12:13], v[1:2], off offset:-4
	global_load_b64 v[14:15], v[3:4], off offset:-4
	s_addk_i32 s7, 0x400
	v_add_co_u32 v1, vcc_lo, v1, s4
	v_add_nc_u32_e32 v11, s7, v0
	v_add_co_ci_u32_e32 v2, vcc_lo, s5, v2, vcc_lo
	s_waitcnt vmcnt(1)
	v_mul_f32_e32 v6, v8, v13
	v_mul_f32_e32 v13, v7, v13
	v_cmp_le_i32_e32 vcc_lo, s14, v11
	s_delay_alu instid0(VALU_DEP_3) | instskip(NEXT) | instid1(VALU_DEP_3)
	v_fma_f32 v6, v7, v12, -v6
	v_fmac_f32_e32 v13, v8, v12
	v_mov_b32_e32 v5, s7
	s_or_b32 s6, vcc_lo, s6
	s_waitcnt vmcnt(0)
	s_delay_alu instid0(VALU_DEP_2) | instskip(SKIP_2) | instid1(VALU_DEP_1)
	v_dual_add_f32 v12, v14, v6 :: v_dual_add_f32 v13, v15, v13
	global_store_b64 v[3:4], v[12:13], off offset:-4
	v_add_co_u32 v3, s0, 0x2000, v3
	v_add_co_ci_u32_e64 v4, s0, 0, v4, s0
	s_and_not1_b32 exec_lo, exec_lo, s6
	s_cbranch_execnz .LBB5_11
; %bb.12:
	s_or_b32 exec_lo, exec_lo, s6
	v_mov_b32_e32 v6, 0
.LBB5_13:
	s_or_b32 exec_lo, exec_lo, s1
	s_delay_alu instid0(SALU_CYCLE_1)
	s_mov_b32 s0, exec_lo
	v_cmpx_eq_u32_e64 s14, v11
	s_cbranch_execz .LBB5_15
; %bb.14:
	v_lshlrev_b64 v[0:1], 3, v[5:6]
	s_load_b64 s[0:1], s[2:3], 0x0
	s_delay_alu instid0(VALU_DEP_1) | instskip(NEXT) | instid1(VALU_DEP_2)
	v_add_co_u32 v0, vcc_lo, v9, v0
	v_add_co_ci_u32_e32 v1, vcc_lo, v10, v1, vcc_lo
	global_load_b32 v2, v[0:1], off
	s_waitcnt lgkmcnt(0)
	v_mul_f32_e32 v3, s1, v8
	s_delay_alu instid0(VALU_DEP_1) | instskip(SKIP_1) | instid1(VALU_DEP_1)
	v_fma_f32 v3, v7, s0, -v3
	s_waitcnt vmcnt(0)
	v_dual_add_f32 v2, v2, v3 :: v_dual_mov_b32 v3, 0
	global_store_b64 v[0:1], v[2:3], off
.LBB5_15:
	s_nop 0
	s_sendmsg sendmsg(MSG_DEALLOC_VGPRS)
	s_endpgm
	.section	.rodata,"a",@progbits
	.p2align	6, 0x0
	.amdhsa_kernel _ZL18rocblas_her_kernelILi1024EfPKPK19rocblas_complex_numIfEPKPS1_EvbiT0_T1_lllT2_llli
		.amdhsa_group_segment_fixed_size 0
		.amdhsa_private_segment_fixed_size 0
		.amdhsa_kernarg_size 84
		.amdhsa_user_sgpr_count 14
		.amdhsa_user_sgpr_dispatch_ptr 0
		.amdhsa_user_sgpr_queue_ptr 0
		.amdhsa_user_sgpr_kernarg_segment_ptr 1
		.amdhsa_user_sgpr_dispatch_id 0
		.amdhsa_user_sgpr_private_segment_size 0
		.amdhsa_wavefront_size32 1
		.amdhsa_uses_dynamic_stack 0
		.amdhsa_enable_private_segment 0
		.amdhsa_system_sgpr_workgroup_id_x 1
		.amdhsa_system_sgpr_workgroup_id_y 0
		.amdhsa_system_sgpr_workgroup_id_z 1
		.amdhsa_system_sgpr_workgroup_info 0
		.amdhsa_system_vgpr_workitem_id 0
		.amdhsa_next_free_vgpr 16
		.amdhsa_next_free_sgpr 27
		.amdhsa_reserve_vcc 1
		.amdhsa_float_round_mode_32 0
		.amdhsa_float_round_mode_16_64 0
		.amdhsa_float_denorm_mode_32 3
		.amdhsa_float_denorm_mode_16_64 3
		.amdhsa_dx10_clamp 1
		.amdhsa_ieee_mode 1
		.amdhsa_fp16_overflow 0
		.amdhsa_workgroup_processor_mode 1
		.amdhsa_memory_ordered 1
		.amdhsa_forward_progress 0
		.amdhsa_shared_vgpr_count 0
		.amdhsa_exception_fp_ieee_invalid_op 0
		.amdhsa_exception_fp_denorm_src 0
		.amdhsa_exception_fp_ieee_div_zero 0
		.amdhsa_exception_fp_ieee_overflow 0
		.amdhsa_exception_fp_ieee_underflow 0
		.amdhsa_exception_fp_ieee_inexact 0
		.amdhsa_exception_int_div_zero 0
	.end_amdhsa_kernel
	.section	.text._ZL18rocblas_her_kernelILi1024EfPKPK19rocblas_complex_numIfEPKPS1_EvbiT0_T1_lllT2_llli,"axG",@progbits,_ZL18rocblas_her_kernelILi1024EfPKPK19rocblas_complex_numIfEPKPS1_EvbiT0_T1_lllT2_llli,comdat
.Lfunc_end5:
	.size	_ZL18rocblas_her_kernelILi1024EfPKPK19rocblas_complex_numIfEPKPS1_EvbiT0_T1_lllT2_llli, .Lfunc_end5-_ZL18rocblas_her_kernelILi1024EfPKPK19rocblas_complex_numIfEPKPS1_EvbiT0_T1_lllT2_llli
                                        ; -- End function
	.section	.AMDGPU.csdata,"",@progbits
; Kernel info:
; codeLenInByte = 1156
; NumSgprs: 29
; NumVgprs: 16
; ScratchSize: 0
; MemoryBound: 0
; FloatMode: 240
; IeeeMode: 1
; LDSByteSize: 0 bytes/workgroup (compile time only)
; SGPRBlocks: 3
; VGPRBlocks: 1
; NumSGPRsForWavesPerEU: 29
; NumVGPRsForWavesPerEU: 16
; Occupancy: 16
; WaveLimiterHint : 1
; COMPUTE_PGM_RSRC2:SCRATCH_EN: 0
; COMPUTE_PGM_RSRC2:USER_SGPR: 14
; COMPUTE_PGM_RSRC2:TRAP_HANDLER: 0
; COMPUTE_PGM_RSRC2:TGID_X_EN: 1
; COMPUTE_PGM_RSRC2:TGID_Y_EN: 0
; COMPUTE_PGM_RSRC2:TGID_Z_EN: 1
; COMPUTE_PGM_RSRC2:TIDIG_COMP_CNT: 0
	.section	.text._ZL18rocblas_her_kernelILi1024EPKdPKPK19rocblas_complex_numIdEPKPS3_EvbiT0_T1_lllT2_llli,"axG",@progbits,_ZL18rocblas_her_kernelILi1024EPKdPKPK19rocblas_complex_numIdEPKPS3_EvbiT0_T1_lllT2_llli,comdat
	.globl	_ZL18rocblas_her_kernelILi1024EPKdPKPK19rocblas_complex_numIdEPKPS3_EvbiT0_T1_lllT2_llli ; -- Begin function _ZL18rocblas_her_kernelILi1024EPKdPKPK19rocblas_complex_numIdEPKPS3_EvbiT0_T1_lllT2_llli
	.p2align	8
	.type	_ZL18rocblas_her_kernelILi1024EPKdPKPK19rocblas_complex_numIdEPKPS3_EvbiT0_T1_lllT2_llli,@function
_ZL18rocblas_her_kernelILi1024EPKdPKPK19rocblas_complex_numIdEPKPS3_EvbiT0_T1_lllT2_llli: ; @_ZL18rocblas_her_kernelILi1024EPKdPKPK19rocblas_complex_numIdEPKPS3_EvbiT0_T1_lllT2_llli
; %bb.0:
	s_load_b256 s[4:11], s[0:1], 0x8
	s_waitcnt lgkmcnt(0)
	s_load_b64 s[22:23], s[4:5], 0x0
	s_waitcnt lgkmcnt(0)
	v_cmp_eq_f64_e64 s3, s[22:23], 0
	s_delay_alu instid0(VALU_DEP_1)
	s_and_b32 vcc_lo, exec_lo, s3
	s_cbranch_vccnz .LBB6_15
; %bb.1:
	s_clause 0x1
	s_load_b64 s[20:21], s[0:1], 0x0
	s_load_b128 s[16:19], s[0:1], 0x30
	s_mov_b32 s2, s15
	s_mov_b32 s3, 0
	s_load_b64 s[0:1], s[0:1], 0x40
	s_lshl_b64 s[4:5], s[2:3], 3
	s_waitcnt lgkmcnt(0)
	s_and_b32 s25, s20, 1
	s_add_u32 s2, s16, s4
	s_addc_u32 s3, s17, s5
	v_cmp_gt_i32_e32 vcc_lo, s21, v0
	s_load_b64 s[2:3], s[2:3], 0x0
	s_lshl_b64 s[12:13], s[0:1], 4
	v_cndmask_b32_e32 v5, 0, v0, vcc_lo
	s_delay_alu instid0(VALU_DEP_1)
	v_lshlrev_b32_e32 v7, 4, v5
	s_waitcnt lgkmcnt(0)
	s_add_u32 s26, s2, s12
	s_addc_u32 s27, s3, s13
	s_add_u32 s0, s6, s4
	s_addc_u32 s1, s7, s5
	s_lshl_b64 s[8:9], s[8:9], 4
	s_load_b64 s[16:17], s[0:1], 0x0
	s_mul_i32 s0, s14, s19
	s_mul_hi_u32 s1, s14, s18
	s_mul_i32 s4, s14, s11
	s_waitcnt lgkmcnt(0)
	s_add_u32 s20, s16, s8
	s_addc_u32 s24, s17, s9
	s_ashr_i32 s15, s14, 31
	s_add_i32 s1, s1, s0
	s_mul_i32 s5, s15, s18
	s_mul_i32 s0, s14, s18
	s_add_i32 s1, s1, s5
	s_mul_hi_u32 s5, s14, s10
	s_lshl_b64 s[18:19], s[0:1], 4
	s_mul_i32 s1, s15, s10
	s_add_u32 s26, s18, s26
	s_addc_u32 s27, s19, s27
	s_add_i32 s4, s5, s4
	s_mul_i32 s0, s14, s10
	s_add_i32 s1, s4, s1
	s_delay_alu instid0(SALU_CYCLE_1) | instskip(NEXT) | instid1(SALU_CYCLE_1)
	s_lshl_b64 s[0:1], s[0:1], 4
	s_add_u32 s0, s20, s0
	s_addc_u32 s1, s24, s1
	s_cmp_eq_u32 s25, 0
	s_load_b128 s[4:7], s[0:1], 0x0
	v_add_co_u32 v11, s0, s26, v7
	s_delay_alu instid0(VALU_DEP_1) | instskip(SKIP_4) | instid1(VALU_DEP_2)
	v_add_co_ci_u32_e64 v12, null, s27, 0, s0
	s_mov_b32 s0, -1
	s_waitcnt lgkmcnt(0)
	v_mul_f64 v[1:2], s[6:7], 0
	v_mul_f64 v[3:4], s[22:23], s[6:7]
	v_fma_f64 v[1:2], s[22:23], s[4:5], v[1:2]
	s_delay_alu instid0(VALU_DEP_2)
	v_fma_f64 v[3:4], s[4:5], 0, -v[3:4]
	s_cbranch_scc0 .LBB6_8
; %bb.2:
	s_mov_b32 s0, exec_lo
	v_cmpx_eq_u32_e32 0, v0
	s_cbranch_execz .LBB6_4
; %bb.3:
	s_lshl_b64 s[22:23], s[14:15], 4
	s_delay_alu instid0(VALU_DEP_2)
	v_mul_f64 v[13:14], s[6:7], v[3:4]
	v_add_co_u32 v5, vcc_lo, v11, s22
	v_add_co_ci_u32_e32 v6, vcc_lo, s23, v12, vcc_lo
	v_mov_b32_e32 v15, 0
	global_load_b64 v[8:9], v[5:6], off
	v_mov_b32_e32 v16, v15
	v_fma_f64 v[13:14], s[4:5], v[1:2], -v[13:14]
	s_waitcnt vmcnt(0)
	s_delay_alu instid0(VALU_DEP_1)
	v_add_f64 v[13:14], v[13:14], v[8:9]
	global_store_b128 v[5:6], v[13:16], off
.LBB6_4:
	s_or_b32 exec_lo, exec_lo, s0
	s_add_i32 s0, s14, 1
	s_mov_b32 s15, exec_lo
	v_add_nc_u32_e32 v8, s0, v0
	s_delay_alu instid0(VALU_DEP_1)
	v_cmpx_gt_i32_e64 s21, v8
	s_cbranch_execz .LBB6_7
; %bb.5:
	s_add_u32 s22, s18, s12
	s_addc_u32 s23, s19, s13
	s_ashr_i32 s1, s0, 31
	s_delay_alu instid0(SALU_CYCLE_1) | instskip(NEXT) | instid1(SALU_CYCLE_1)
	s_lshl_b64 s[0:1], s[0:1], 4
	s_add_u32 s0, s22, s0
	s_addc_u32 s1, s23, s1
	s_add_u32 s0, s2, s0
	s_addc_u32 s1, s3, s1
	v_add_co_u32 v5, s0, s0, v7
	s_delay_alu instid0(VALU_DEP_1) | instskip(SKIP_1) | instid1(VALU_DEP_2)
	v_add_co_ci_u32_e64 v6, null, s1, 0, s0
	s_mov_b32 s1, 0
	v_add_co_u32 v5, vcc_lo, v5, 8
	s_delay_alu instid0(VALU_DEP_2)
	v_add_co_ci_u32_e32 v6, vcc_lo, 0, v6, vcc_lo
	s_set_inst_prefetch_distance 0x1
	.p2align	6
.LBB6_6:                                ; =>This Inner Loop Header: Depth=1
	v_ashrrev_i32_e32 v13, 31, v8
	v_mul_lo_u32 v14, v8, s11
	v_mad_u64_u32 v[9:10], null, v8, s10, 0
	v_add_nc_u32_e32 v8, 0x400, v8
	s_delay_alu instid0(VALU_DEP_4) | instskip(NEXT) | instid1(VALU_DEP_1)
	v_mul_lo_u32 v13, v13, s10
	v_add3_u32 v10, v10, v14, v13
	s_delay_alu instid0(VALU_DEP_1) | instskip(NEXT) | instid1(VALU_DEP_1)
	v_lshlrev_b64 v[9:10], 4, v[9:10]
	v_add_co_u32 v9, vcc_lo, s20, v9
	s_delay_alu instid0(VALU_DEP_2)
	v_add_co_ci_u32_e32 v10, vcc_lo, s24, v10, vcc_lo
	v_cmp_le_i32_e32 vcc_lo, s21, v8
	global_load_b128 v[13:16], v[9:10], off
	global_load_b128 v[17:20], v[5:6], off offset:-8
	s_or_b32 s1, vcc_lo, s1
	s_waitcnt vmcnt(1)
	v_mul_f64 v[9:10], v[3:4], v[15:16]
	v_mul_f64 v[15:16], v[1:2], v[15:16]
	s_delay_alu instid0(VALU_DEP_2) | instskip(NEXT) | instid1(VALU_DEP_2)
	v_fma_f64 v[9:10], v[1:2], v[13:14], -v[9:10]
	v_fma_f64 v[15:16], v[3:4], v[13:14], v[15:16]
	s_waitcnt vmcnt(0)
	s_delay_alu instid0(VALU_DEP_2) | instskip(NEXT) | instid1(VALU_DEP_2)
	v_add_f64 v[13:14], v[17:18], v[9:10]
	v_add_f64 v[15:16], v[19:20], v[15:16]
	global_store_b128 v[5:6], v[13:16], off offset:-8
	v_add_co_u32 v5, s0, 0x4000, v5
	s_delay_alu instid0(VALU_DEP_1)
	v_add_co_ci_u32_e64 v6, s0, 0, v6, s0
	s_and_not1_b32 exec_lo, exec_lo, s1
	s_cbranch_execnz .LBB6_6
.LBB6_7:
	s_set_inst_prefetch_distance 0x2
	s_or_b32 exec_lo, exec_lo, s15
	s_mov_b32 s0, 0
.LBB6_8:
	s_delay_alu instid0(SALU_CYCLE_1)
	s_and_b32 vcc_lo, exec_lo, s0
	s_cbranch_vccz .LBB6_15
; %bb.9:
	v_mov_b32_e32 v9, 0
	v_dual_mov_b32 v10, 0 :: v_dual_mov_b32 v13, v0
	s_mov_b32 s1, exec_lo
	v_cmpx_gt_i32_e64 s14, v0
	s_cbranch_execz .LBB6_13
; %bb.10:
	v_mad_u64_u32 v[5:6], null, s10, v0, 0
	s_add_u32 s0, s16, s8
	s_addc_u32 s15, s17, s9
	s_lshl_b64 s[8:9], s[10:11], 14
	s_add_u32 s10, s18, s12
	s_delay_alu instid0(VALU_DEP_1) | instskip(SKIP_3) | instid1(VALU_DEP_1)
	v_mad_u64_u32 v[8:9], null, s11, v0, v[6:7]
	s_addc_u32 s11, s19, s13
	s_add_u32 s2, s2, s10
	s_addc_u32 s3, s3, s11
	v_mov_b32_e32 v6, v8
	s_delay_alu instid0(VALU_DEP_1) | instskip(NEXT) | instid1(VALU_DEP_1)
	v_lshlrev_b64 v[5:6], 4, v[5:6]
	v_add_co_u32 v5, vcc_lo, s0, v5
	s_delay_alu instid0(VALU_DEP_2) | instskip(SKIP_1) | instid1(VALU_DEP_1)
	v_add_co_ci_u32_e32 v6, vcc_lo, s15, v6, vcc_lo
	v_add_co_u32 v7, s0, s2, v7
	v_add_co_ci_u32_e64 v8, null, s3, 0, s0
	s_delay_alu instid0(VALU_DEP_4) | instskip(NEXT) | instid1(VALU_DEP_4)
	v_add_co_u32 v5, vcc_lo, v5, 8
	v_add_co_ci_u32_e32 v6, vcc_lo, 0, v6, vcc_lo
	s_delay_alu instid0(VALU_DEP_4) | instskip(NEXT) | instid1(VALU_DEP_4)
	v_add_co_u32 v7, vcc_lo, v7, 8
	v_add_co_ci_u32_e32 v8, vcc_lo, 0, v8, vcc_lo
	s_mov_b32 s2, 0
	s_mov_b32 s3, 0
	s_set_inst_prefetch_distance 0x1
	.p2align	6
.LBB6_11:                               ; =>This Inner Loop Header: Depth=1
	global_load_b128 v[13:16], v[5:6], off offset:-8
	global_load_b128 v[17:20], v[7:8], off offset:-8
	s_addk_i32 s3, 0x400
	v_add_co_u32 v5, vcc_lo, v5, s8
	v_add_co_ci_u32_e32 v6, vcc_lo, s9, v6, vcc_lo
	s_waitcnt vmcnt(1)
	v_mul_f64 v[9:10], v[3:4], v[15:16]
	v_mul_f64 v[15:16], v[1:2], v[15:16]
	s_delay_alu instid0(VALU_DEP_2) | instskip(NEXT) | instid1(VALU_DEP_2)
	v_fma_f64 v[9:10], v[1:2], v[13:14], -v[9:10]
	v_fma_f64 v[21:22], v[3:4], v[13:14], v[15:16]
	v_add_nc_u32_e32 v13, s3, v0
	s_delay_alu instid0(VALU_DEP_1) | instskip(SKIP_2) | instid1(VALU_DEP_4)
	v_cmp_le_i32_e32 vcc_lo, s14, v13
	s_or_b32 s2, vcc_lo, s2
	s_waitcnt vmcnt(0)
	v_add_f64 v[14:15], v[17:18], v[9:10]
	s_delay_alu instid0(VALU_DEP_4) | instskip(SKIP_3) | instid1(VALU_DEP_1)
	v_add_f64 v[16:17], v[19:20], v[21:22]
	v_mov_b32_e32 v9, s3
	global_store_b128 v[7:8], v[14:17], off offset:-8
	v_add_co_u32 v7, s0, 0x4000, v7
	v_add_co_ci_u32_e64 v8, s0, 0, v8, s0
	s_and_not1_b32 exec_lo, exec_lo, s2
	s_cbranch_execnz .LBB6_11
; %bb.12:
	s_set_inst_prefetch_distance 0x2
	s_or_b32 exec_lo, exec_lo, s2
	v_mov_b32_e32 v10, 0
.LBB6_13:
	s_or_b32 exec_lo, exec_lo, s1
	s_delay_alu instid0(SALU_CYCLE_1)
	s_mov_b32 s0, exec_lo
	v_cmpx_eq_u32_e64 s14, v13
	s_cbranch_execz .LBB6_15
; %bb.14:
	v_lshlrev_b64 v[5:6], 4, v[9:10]
	v_mul_f64 v[3:4], s[6:7], v[3:4]
	s_delay_alu instid0(VALU_DEP_2) | instskip(NEXT) | instid1(VALU_DEP_3)
	v_add_co_u32 v5, vcc_lo, v11, v5
	v_add_co_ci_u32_e32 v6, vcc_lo, v12, v6, vcc_lo
	global_load_b64 v[7:8], v[5:6], off
	v_fma_f64 v[0:1], s[4:5], v[1:2], -v[3:4]
	v_mov_b32_e32 v2, 0
	s_delay_alu instid0(VALU_DEP_1) | instskip(SKIP_1) | instid1(VALU_DEP_3)
	v_mov_b32_e32 v3, v2
	s_waitcnt vmcnt(0)
	v_add_f64 v[0:1], v[0:1], v[7:8]
	global_store_b128 v[5:6], v[0:3], off
.LBB6_15:
	s_nop 0
	s_sendmsg sendmsg(MSG_DEALLOC_VGPRS)
	s_endpgm
	.section	.rodata,"a",@progbits
	.p2align	6, 0x0
	.amdhsa_kernel _ZL18rocblas_her_kernelILi1024EPKdPKPK19rocblas_complex_numIdEPKPS3_EvbiT0_T1_lllT2_llli
		.amdhsa_group_segment_fixed_size 0
		.amdhsa_private_segment_fixed_size 0
		.amdhsa_kernarg_size 84
		.amdhsa_user_sgpr_count 14
		.amdhsa_user_sgpr_dispatch_ptr 0
		.amdhsa_user_sgpr_queue_ptr 0
		.amdhsa_user_sgpr_kernarg_segment_ptr 1
		.amdhsa_user_sgpr_dispatch_id 0
		.amdhsa_user_sgpr_private_segment_size 0
		.amdhsa_wavefront_size32 1
		.amdhsa_uses_dynamic_stack 0
		.amdhsa_enable_private_segment 0
		.amdhsa_system_sgpr_workgroup_id_x 1
		.amdhsa_system_sgpr_workgroup_id_y 0
		.amdhsa_system_sgpr_workgroup_id_z 1
		.amdhsa_system_sgpr_workgroup_info 0
		.amdhsa_system_vgpr_workitem_id 0
		.amdhsa_next_free_vgpr 23
		.amdhsa_next_free_sgpr 28
		.amdhsa_reserve_vcc 1
		.amdhsa_float_round_mode_32 0
		.amdhsa_float_round_mode_16_64 0
		.amdhsa_float_denorm_mode_32 3
		.amdhsa_float_denorm_mode_16_64 3
		.amdhsa_dx10_clamp 1
		.amdhsa_ieee_mode 1
		.amdhsa_fp16_overflow 0
		.amdhsa_workgroup_processor_mode 1
		.amdhsa_memory_ordered 1
		.amdhsa_forward_progress 0
		.amdhsa_shared_vgpr_count 0
		.amdhsa_exception_fp_ieee_invalid_op 0
		.amdhsa_exception_fp_denorm_src 0
		.amdhsa_exception_fp_ieee_div_zero 0
		.amdhsa_exception_fp_ieee_overflow 0
		.amdhsa_exception_fp_ieee_underflow 0
		.amdhsa_exception_fp_ieee_inexact 0
		.amdhsa_exception_int_div_zero 0
	.end_amdhsa_kernel
	.section	.text._ZL18rocblas_her_kernelILi1024EPKdPKPK19rocblas_complex_numIdEPKPS3_EvbiT0_T1_lllT2_llli,"axG",@progbits,_ZL18rocblas_her_kernelILi1024EPKdPKPK19rocblas_complex_numIdEPKPS3_EvbiT0_T1_lllT2_llli,comdat
.Lfunc_end6:
	.size	_ZL18rocblas_her_kernelILi1024EPKdPKPK19rocblas_complex_numIdEPKPS3_EvbiT0_T1_lllT2_llli, .Lfunc_end6-_ZL18rocblas_her_kernelILi1024EPKdPKPK19rocblas_complex_numIdEPKPS3_EvbiT0_T1_lllT2_llli
                                        ; -- End function
	.section	.AMDGPU.csdata,"",@progbits
; Kernel info:
; codeLenInByte = 1208
; NumSgprs: 30
; NumVgprs: 23
; ScratchSize: 0
; MemoryBound: 0
; FloatMode: 240
; IeeeMode: 1
; LDSByteSize: 0 bytes/workgroup (compile time only)
; SGPRBlocks: 3
; VGPRBlocks: 2
; NumSGPRsForWavesPerEU: 30
; NumVGPRsForWavesPerEU: 23
; Occupancy: 16
; WaveLimiterHint : 1
; COMPUTE_PGM_RSRC2:SCRATCH_EN: 0
; COMPUTE_PGM_RSRC2:USER_SGPR: 14
; COMPUTE_PGM_RSRC2:TRAP_HANDLER: 0
; COMPUTE_PGM_RSRC2:TGID_X_EN: 1
; COMPUTE_PGM_RSRC2:TGID_Y_EN: 0
; COMPUTE_PGM_RSRC2:TGID_Z_EN: 1
; COMPUTE_PGM_RSRC2:TIDIG_COMP_CNT: 0
	.section	.text._ZL18rocblas_her_kernelILi1024EdPKPK19rocblas_complex_numIdEPKPS1_EvbiT0_T1_lllT2_llli,"axG",@progbits,_ZL18rocblas_her_kernelILi1024EdPKPK19rocblas_complex_numIdEPKPS1_EvbiT0_T1_lllT2_llli,comdat
	.globl	_ZL18rocblas_her_kernelILi1024EdPKPK19rocblas_complex_numIdEPKPS1_EvbiT0_T1_lllT2_llli ; -- Begin function _ZL18rocblas_her_kernelILi1024EdPKPK19rocblas_complex_numIdEPKPS1_EvbiT0_T1_lllT2_llli
	.p2align	8
	.type	_ZL18rocblas_her_kernelILi1024EdPKPK19rocblas_complex_numIdEPKPS1_EvbiT0_T1_lllT2_llli,@function
_ZL18rocblas_her_kernelILi1024EdPKPK19rocblas_complex_numIdEPKPS1_EvbiT0_T1_lllT2_llli: ; @_ZL18rocblas_her_kernelILi1024EdPKPK19rocblas_complex_numIdEPKPS1_EvbiT0_T1_lllT2_llli
; %bb.0:
	s_load_b256 s[4:11], s[0:1], 0x8
	s_waitcnt lgkmcnt(0)
	v_cmp_eq_f64_e64 s3, s[4:5], 0
	s_delay_alu instid0(VALU_DEP_1)
	s_and_b32 vcc_lo, exec_lo, s3
	s_cbranch_vccnz .LBB7_15
; %bb.1:
	s_clause 0x1
	s_load_b64 s[20:21], s[0:1], 0x0
	s_load_b128 s[16:19], s[0:1], 0x30
	s_mov_b32 s2, s15
	s_mov_b32 s3, 0
	s_load_b64 s[0:1], s[0:1], 0x40
	s_lshl_b64 s[22:23], s[2:3], 3
	s_mul_i32 s26, s14, s11
	s_waitcnt lgkmcnt(0)
	s_and_b32 s25, s20, 1
	s_add_u32 s2, s16, s22
	s_addc_u32 s3, s17, s23
	v_cmp_gt_i32_e32 vcc_lo, s21, v0
	s_load_b64 s[2:3], s[2:3], 0x0
	s_lshl_b64 s[12:13], s[0:1], 4
	v_cndmask_b32_e32 v5, 0, v0, vcc_lo
	s_delay_alu instid0(VALU_DEP_1)
	v_lshlrev_b32_e32 v7, 4, v5
	s_waitcnt lgkmcnt(0)
	s_add_u32 s16, s2, s12
	s_addc_u32 s17, s3, s13
	s_add_u32 s0, s6, s22
	s_addc_u32 s1, s7, s23
	s_lshl_b64 s[8:9], s[8:9], 4
	s_load_b64 s[6:7], s[0:1], 0x0
	s_mul_i32 s0, s14, s19
	s_mul_hi_u32 s1, s14, s18
	s_waitcnt lgkmcnt(0)
	s_add_u32 s20, s6, s8
	s_addc_u32 s24, s7, s9
	s_ashr_i32 s15, s14, 31
	s_add_i32 s1, s1, s0
	s_mul_i32 s19, s15, s18
	s_mul_i32 s0, s14, s18
	s_add_i32 s1, s1, s19
	s_mul_hi_u32 s18, s14, s10
	s_lshl_b64 s[22:23], s[0:1], 4
	s_mul_i32 s1, s15, s10
	s_add_u32 s27, s22, s16
	s_addc_u32 s28, s23, s17
	s_add_i32 s16, s18, s26
	s_mul_i32 s0, s14, s10
	s_add_i32 s1, s16, s1
	s_delay_alu instid0(SALU_CYCLE_1) | instskip(NEXT) | instid1(SALU_CYCLE_1)
	s_lshl_b64 s[0:1], s[0:1], 4
	s_add_u32 s0, s20, s0
	s_addc_u32 s1, s24, s1
	s_cmp_eq_u32 s25, 0
	s_load_b128 s[16:19], s[0:1], 0x0
	v_add_co_u32 v11, s0, s27, v7
	s_delay_alu instid0(VALU_DEP_1) | instskip(SKIP_4) | instid1(VALU_DEP_2)
	v_add_co_ci_u32_e64 v12, null, s28, 0, s0
	s_mov_b32 s0, -1
	s_waitcnt lgkmcnt(0)
	v_mul_f64 v[1:2], s[18:19], 0
	v_mul_f64 v[3:4], s[18:19], s[4:5]
	v_fma_f64 v[1:2], s[16:17], s[4:5], v[1:2]
	s_delay_alu instid0(VALU_DEP_2)
	v_fma_f64 v[3:4], s[16:17], 0, -v[3:4]
	s_cbranch_scc0 .LBB7_8
; %bb.2:
	s_mov_b32 s0, exec_lo
	v_cmpx_eq_u32_e32 0, v0
	s_cbranch_execz .LBB7_4
; %bb.3:
	s_lshl_b64 s[4:5], s[14:15], 4
	s_delay_alu instid0(VALU_DEP_2)
	v_mul_f64 v[13:14], s[18:19], v[3:4]
	v_add_co_u32 v5, vcc_lo, v11, s4
	v_add_co_ci_u32_e32 v6, vcc_lo, s5, v12, vcc_lo
	v_mov_b32_e32 v15, 0
	global_load_b64 v[8:9], v[5:6], off
	v_mov_b32_e32 v16, v15
	v_fma_f64 v[13:14], s[16:17], v[1:2], -v[13:14]
	s_waitcnt vmcnt(0)
	s_delay_alu instid0(VALU_DEP_1)
	v_add_f64 v[13:14], v[13:14], v[8:9]
	global_store_b128 v[5:6], v[13:16], off
.LBB7_4:
	s_or_b32 exec_lo, exec_lo, s0
	s_add_i32 s0, s14, 1
	s_mov_b32 s4, exec_lo
	v_add_nc_u32_e32 v8, s0, v0
	s_delay_alu instid0(VALU_DEP_1)
	v_cmpx_gt_i32_e64 s21, v8
	s_cbranch_execz .LBB7_7
; %bb.5:
	s_add_u32 s5, s22, s12
	s_addc_u32 s15, s23, s13
	s_ashr_i32 s1, s0, 31
	s_delay_alu instid0(SALU_CYCLE_1) | instskip(NEXT) | instid1(SALU_CYCLE_1)
	s_lshl_b64 s[0:1], s[0:1], 4
	s_add_u32 s0, s5, s0
	s_addc_u32 s1, s15, s1
	s_add_u32 s0, s2, s0
	s_addc_u32 s1, s3, s1
	v_add_co_u32 v5, s0, s0, v7
	s_delay_alu instid0(VALU_DEP_1) | instskip(SKIP_1) | instid1(VALU_DEP_2)
	v_add_co_ci_u32_e64 v6, null, s1, 0, s0
	s_mov_b32 s1, 0
	v_add_co_u32 v5, vcc_lo, v5, 8
	s_delay_alu instid0(VALU_DEP_2)
	v_add_co_ci_u32_e32 v6, vcc_lo, 0, v6, vcc_lo
	s_set_inst_prefetch_distance 0x1
	.p2align	6
.LBB7_6:                                ; =>This Inner Loop Header: Depth=1
	v_ashrrev_i32_e32 v13, 31, v8
	v_mul_lo_u32 v14, v8, s11
	v_mad_u64_u32 v[9:10], null, v8, s10, 0
	v_add_nc_u32_e32 v8, 0x400, v8
	s_delay_alu instid0(VALU_DEP_4) | instskip(NEXT) | instid1(VALU_DEP_1)
	v_mul_lo_u32 v13, v13, s10
	v_add3_u32 v10, v10, v14, v13
	s_delay_alu instid0(VALU_DEP_1) | instskip(NEXT) | instid1(VALU_DEP_1)
	v_lshlrev_b64 v[9:10], 4, v[9:10]
	v_add_co_u32 v9, vcc_lo, s20, v9
	s_delay_alu instid0(VALU_DEP_2)
	v_add_co_ci_u32_e32 v10, vcc_lo, s24, v10, vcc_lo
	v_cmp_le_i32_e32 vcc_lo, s21, v8
	global_load_b128 v[13:16], v[9:10], off
	global_load_b128 v[17:20], v[5:6], off offset:-8
	s_or_b32 s1, vcc_lo, s1
	s_waitcnt vmcnt(1)
	v_mul_f64 v[9:10], v[3:4], v[15:16]
	v_mul_f64 v[15:16], v[1:2], v[15:16]
	s_delay_alu instid0(VALU_DEP_2) | instskip(NEXT) | instid1(VALU_DEP_2)
	v_fma_f64 v[9:10], v[1:2], v[13:14], -v[9:10]
	v_fma_f64 v[15:16], v[3:4], v[13:14], v[15:16]
	s_waitcnt vmcnt(0)
	s_delay_alu instid0(VALU_DEP_2) | instskip(NEXT) | instid1(VALU_DEP_2)
	v_add_f64 v[13:14], v[17:18], v[9:10]
	v_add_f64 v[15:16], v[19:20], v[15:16]
	global_store_b128 v[5:6], v[13:16], off offset:-8
	v_add_co_u32 v5, s0, 0x4000, v5
	s_delay_alu instid0(VALU_DEP_1)
	v_add_co_ci_u32_e64 v6, s0, 0, v6, s0
	s_and_not1_b32 exec_lo, exec_lo, s1
	s_cbranch_execnz .LBB7_6
.LBB7_7:
	s_set_inst_prefetch_distance 0x2
	s_or_b32 exec_lo, exec_lo, s4
	s_mov_b32 s0, 0
.LBB7_8:
	s_delay_alu instid0(SALU_CYCLE_1)
	s_and_b32 vcc_lo, exec_lo, s0
	s_cbranch_vccz .LBB7_15
; %bb.9:
	v_mov_b32_e32 v9, 0
	v_dual_mov_b32 v10, 0 :: v_dual_mov_b32 v13, v0
	s_mov_b32 s1, exec_lo
	v_cmpx_gt_i32_e64 s14, v0
	s_cbranch_execz .LBB7_13
; %bb.10:
	v_mad_u64_u32 v[5:6], null, s10, v0, 0
	s_add_u32 s0, s6, s8
	s_addc_u32 s6, s7, s9
	s_lshl_b64 s[4:5], s[10:11], 14
	s_add_u32 s7, s22, s12
	s_addc_u32 s8, s23, s13
	s_add_u32 s2, s2, s7
	s_delay_alu instid0(VALU_DEP_1) | instskip(SKIP_1) | instid1(VALU_DEP_1)
	v_mad_u64_u32 v[8:9], null, s11, v0, v[6:7]
	s_addc_u32 s3, s3, s8
	v_mov_b32_e32 v6, v8
	s_delay_alu instid0(VALU_DEP_1) | instskip(NEXT) | instid1(VALU_DEP_1)
	v_lshlrev_b64 v[5:6], 4, v[5:6]
	v_add_co_u32 v5, vcc_lo, s0, v5
	s_delay_alu instid0(VALU_DEP_2) | instskip(SKIP_1) | instid1(VALU_DEP_1)
	v_add_co_ci_u32_e32 v6, vcc_lo, s6, v6, vcc_lo
	v_add_co_u32 v7, s0, s2, v7
	v_add_co_ci_u32_e64 v8, null, s3, 0, s0
	s_delay_alu instid0(VALU_DEP_4) | instskip(NEXT) | instid1(VALU_DEP_4)
	v_add_co_u32 v5, vcc_lo, v5, 8
	v_add_co_ci_u32_e32 v6, vcc_lo, 0, v6, vcc_lo
	s_delay_alu instid0(VALU_DEP_4) | instskip(NEXT) | instid1(VALU_DEP_4)
	v_add_co_u32 v7, vcc_lo, v7, 8
	v_add_co_ci_u32_e32 v8, vcc_lo, 0, v8, vcc_lo
	s_mov_b32 s2, 0
	s_mov_b32 s3, 0
	s_set_inst_prefetch_distance 0x1
	.p2align	6
.LBB7_11:                               ; =>This Inner Loop Header: Depth=1
	global_load_b128 v[13:16], v[5:6], off offset:-8
	global_load_b128 v[17:20], v[7:8], off offset:-8
	s_addk_i32 s3, 0x400
	v_add_co_u32 v5, vcc_lo, v5, s4
	v_add_co_ci_u32_e32 v6, vcc_lo, s5, v6, vcc_lo
	s_waitcnt vmcnt(1)
	v_mul_f64 v[9:10], v[3:4], v[15:16]
	v_mul_f64 v[15:16], v[1:2], v[15:16]
	s_delay_alu instid0(VALU_DEP_2) | instskip(NEXT) | instid1(VALU_DEP_2)
	v_fma_f64 v[9:10], v[1:2], v[13:14], -v[9:10]
	v_fma_f64 v[21:22], v[3:4], v[13:14], v[15:16]
	v_add_nc_u32_e32 v13, s3, v0
	s_delay_alu instid0(VALU_DEP_1) | instskip(SKIP_2) | instid1(VALU_DEP_4)
	v_cmp_le_i32_e32 vcc_lo, s14, v13
	s_or_b32 s2, vcc_lo, s2
	s_waitcnt vmcnt(0)
	v_add_f64 v[14:15], v[17:18], v[9:10]
	s_delay_alu instid0(VALU_DEP_4) | instskip(SKIP_3) | instid1(VALU_DEP_1)
	v_add_f64 v[16:17], v[19:20], v[21:22]
	v_mov_b32_e32 v9, s3
	global_store_b128 v[7:8], v[14:17], off offset:-8
	v_add_co_u32 v7, s0, 0x4000, v7
	v_add_co_ci_u32_e64 v8, s0, 0, v8, s0
	s_and_not1_b32 exec_lo, exec_lo, s2
	s_cbranch_execnz .LBB7_11
; %bb.12:
	s_set_inst_prefetch_distance 0x2
	s_or_b32 exec_lo, exec_lo, s2
	v_mov_b32_e32 v10, 0
.LBB7_13:
	s_or_b32 exec_lo, exec_lo, s1
	s_delay_alu instid0(SALU_CYCLE_1)
	s_mov_b32 s0, exec_lo
	v_cmpx_eq_u32_e64 s14, v13
	s_cbranch_execz .LBB7_15
; %bb.14:
	v_lshlrev_b64 v[5:6], 4, v[9:10]
	v_mul_f64 v[3:4], s[18:19], v[3:4]
	s_delay_alu instid0(VALU_DEP_2) | instskip(NEXT) | instid1(VALU_DEP_3)
	v_add_co_u32 v5, vcc_lo, v11, v5
	v_add_co_ci_u32_e32 v6, vcc_lo, v12, v6, vcc_lo
	global_load_b64 v[7:8], v[5:6], off
	v_fma_f64 v[0:1], s[16:17], v[1:2], -v[3:4]
	v_mov_b32_e32 v2, 0
	s_delay_alu instid0(VALU_DEP_1) | instskip(SKIP_1) | instid1(VALU_DEP_3)
	v_mov_b32_e32 v3, v2
	s_waitcnt vmcnt(0)
	v_add_f64 v[0:1], v[0:1], v[7:8]
	global_store_b128 v[5:6], v[0:3], off
.LBB7_15:
	s_nop 0
	s_sendmsg sendmsg(MSG_DEALLOC_VGPRS)
	s_endpgm
	.section	.rodata,"a",@progbits
	.p2align	6, 0x0
	.amdhsa_kernel _ZL18rocblas_her_kernelILi1024EdPKPK19rocblas_complex_numIdEPKPS1_EvbiT0_T1_lllT2_llli
		.amdhsa_group_segment_fixed_size 0
		.amdhsa_private_segment_fixed_size 0
		.amdhsa_kernarg_size 84
		.amdhsa_user_sgpr_count 14
		.amdhsa_user_sgpr_dispatch_ptr 0
		.amdhsa_user_sgpr_queue_ptr 0
		.amdhsa_user_sgpr_kernarg_segment_ptr 1
		.amdhsa_user_sgpr_dispatch_id 0
		.amdhsa_user_sgpr_private_segment_size 0
		.amdhsa_wavefront_size32 1
		.amdhsa_uses_dynamic_stack 0
		.amdhsa_enable_private_segment 0
		.amdhsa_system_sgpr_workgroup_id_x 1
		.amdhsa_system_sgpr_workgroup_id_y 0
		.amdhsa_system_sgpr_workgroup_id_z 1
		.amdhsa_system_sgpr_workgroup_info 0
		.amdhsa_system_vgpr_workitem_id 0
		.amdhsa_next_free_vgpr 23
		.amdhsa_next_free_sgpr 29
		.amdhsa_reserve_vcc 1
		.amdhsa_float_round_mode_32 0
		.amdhsa_float_round_mode_16_64 0
		.amdhsa_float_denorm_mode_32 3
		.amdhsa_float_denorm_mode_16_64 3
		.amdhsa_dx10_clamp 1
		.amdhsa_ieee_mode 1
		.amdhsa_fp16_overflow 0
		.amdhsa_workgroup_processor_mode 1
		.amdhsa_memory_ordered 1
		.amdhsa_forward_progress 0
		.amdhsa_shared_vgpr_count 0
		.amdhsa_exception_fp_ieee_invalid_op 0
		.amdhsa_exception_fp_denorm_src 0
		.amdhsa_exception_fp_ieee_div_zero 0
		.amdhsa_exception_fp_ieee_overflow 0
		.amdhsa_exception_fp_ieee_underflow 0
		.amdhsa_exception_fp_ieee_inexact 0
		.amdhsa_exception_int_div_zero 0
	.end_amdhsa_kernel
	.section	.text._ZL18rocblas_her_kernelILi1024EdPKPK19rocblas_complex_numIdEPKPS1_EvbiT0_T1_lllT2_llli,"axG",@progbits,_ZL18rocblas_her_kernelILi1024EdPKPK19rocblas_complex_numIdEPKPS1_EvbiT0_T1_lllT2_llli,comdat
.Lfunc_end7:
	.size	_ZL18rocblas_her_kernelILi1024EdPKPK19rocblas_complex_numIdEPKPS1_EvbiT0_T1_lllT2_llli, .Lfunc_end7-_ZL18rocblas_her_kernelILi1024EdPKPK19rocblas_complex_numIdEPKPS1_EvbiT0_T1_lllT2_llli
                                        ; -- End function
	.section	.AMDGPU.csdata,"",@progbits
; Kernel info:
; codeLenInByte = 1196
; NumSgprs: 31
; NumVgprs: 23
; ScratchSize: 0
; MemoryBound: 0
; FloatMode: 240
; IeeeMode: 1
; LDSByteSize: 0 bytes/workgroup (compile time only)
; SGPRBlocks: 3
; VGPRBlocks: 2
; NumSGPRsForWavesPerEU: 31
; NumVGPRsForWavesPerEU: 23
; Occupancy: 16
; WaveLimiterHint : 1
; COMPUTE_PGM_RSRC2:SCRATCH_EN: 0
; COMPUTE_PGM_RSRC2:USER_SGPR: 14
; COMPUTE_PGM_RSRC2:TRAP_HANDLER: 0
; COMPUTE_PGM_RSRC2:TGID_X_EN: 1
; COMPUTE_PGM_RSRC2:TGID_Y_EN: 0
; COMPUTE_PGM_RSRC2:TGID_Z_EN: 1
; COMPUTE_PGM_RSRC2:TIDIG_COMP_CNT: 0
	.text
	.p2alignl 7, 3214868480
	.fill 96, 4, 3214868480
	.type	__hip_cuid_a33009c68b473374,@object ; @__hip_cuid_a33009c68b473374
	.section	.bss,"aw",@nobits
	.globl	__hip_cuid_a33009c68b473374
__hip_cuid_a33009c68b473374:
	.byte	0                               ; 0x0
	.size	__hip_cuid_a33009c68b473374, 1

	.ident	"AMD clang version 19.0.0git (https://github.com/RadeonOpenCompute/llvm-project roc-6.4.0 25133 c7fe45cf4b819c5991fe208aaa96edf142730f1d)"
	.section	".note.GNU-stack","",@progbits
	.addrsig
	.addrsig_sym __hip_cuid_a33009c68b473374
	.amdgpu_metadata
---
amdhsa.kernels:
  - .args:
      - .offset:         0
        .size:           1
        .value_kind:     by_value
      - .offset:         4
        .size:           4
        .value_kind:     by_value
      - .address_space:  global
        .offset:         8
        .size:           8
        .value_kind:     global_buffer
      - .address_space:  global
        .offset:         16
        .size:           8
        .value_kind:     global_buffer
      - .offset:         24
        .size:           8
        .value_kind:     by_value
      - .offset:         32
        .size:           8
        .value_kind:     by_value
      - .offset:         40
        .size:           8
        .value_kind:     by_value
      - .address_space:  global
        .offset:         48
        .size:           8
        .value_kind:     global_buffer
      - .offset:         56
        .size:           8
        .value_kind:     by_value
      - .offset:         64
        .size:           8
        .value_kind:     by_value
      - .offset:         72
        .size:           8
        .value_kind:     by_value
      - .offset:         80
        .size:           4
        .value_kind:     by_value
    .group_segment_fixed_size: 0
    .kernarg_segment_align: 8
    .kernarg_segment_size: 84
    .language:       OpenCL C
    .language_version:
      - 2
      - 0
    .max_flat_workgroup_size: 1024
    .name:           _ZL18rocblas_her_kernelILi1024EPKfPK19rocblas_complex_numIfEPS3_EvbiT0_T1_lllT2_llli
    .private_segment_fixed_size: 0
    .sgpr_count:     34
    .sgpr_spill_count: 0
    .symbol:         _ZL18rocblas_her_kernelILi1024EPKfPK19rocblas_complex_numIfEPS3_EvbiT0_T1_lllT2_llli.kd
    .uniform_work_group_size: 1
    .uses_dynamic_stack: false
    .vgpr_count:     16
    .vgpr_spill_count: 0
    .wavefront_size: 32
    .workgroup_processor_mode: 1
  - .args:
      - .offset:         0
        .size:           1
        .value_kind:     by_value
      - .offset:         4
        .size:           4
        .value_kind:     by_value
      - .offset:         8
        .size:           4
        .value_kind:     by_value
      - .address_space:  global
        .offset:         16
        .size:           8
        .value_kind:     global_buffer
      - .offset:         24
        .size:           8
        .value_kind:     by_value
      - .offset:         32
        .size:           8
        .value_kind:     by_value
      - .offset:         40
        .size:           8
        .value_kind:     by_value
      - .address_space:  global
        .offset:         48
        .size:           8
        .value_kind:     global_buffer
      - .offset:         56
        .size:           8
        .value_kind:     by_value
      - .offset:         64
        .size:           8
        .value_kind:     by_value
      - .offset:         72
        .size:           8
        .value_kind:     by_value
      - .offset:         80
        .size:           4
        .value_kind:     by_value
    .group_segment_fixed_size: 0
    .kernarg_segment_align: 8
    .kernarg_segment_size: 84
    .language:       OpenCL C
    .language_version:
      - 2
      - 0
    .max_flat_workgroup_size: 1024
    .name:           _ZL18rocblas_her_kernelILi1024EfPK19rocblas_complex_numIfEPS1_EvbiT0_T1_lllT2_llli
    .private_segment_fixed_size: 0
    .sgpr_count:     36
    .sgpr_spill_count: 0
    .symbol:         _ZL18rocblas_her_kernelILi1024EfPK19rocblas_complex_numIfEPS1_EvbiT0_T1_lllT2_llli.kd
    .uniform_work_group_size: 1
    .uses_dynamic_stack: false
    .vgpr_count:     16
    .vgpr_spill_count: 0
    .wavefront_size: 32
    .workgroup_processor_mode: 1
  - .args:
      - .offset:         0
        .size:           1
        .value_kind:     by_value
      - .offset:         4
        .size:           4
        .value_kind:     by_value
      - .address_space:  global
        .offset:         8
        .size:           8
        .value_kind:     global_buffer
      - .address_space:  global
        .offset:         16
        .size:           8
        .value_kind:     global_buffer
      - .offset:         24
        .size:           8
        .value_kind:     by_value
      - .offset:         32
        .size:           8
        .value_kind:     by_value
      - .offset:         40
        .size:           8
        .value_kind:     by_value
      - .address_space:  global
        .offset:         48
        .size:           8
        .value_kind:     global_buffer
      - .offset:         56
        .size:           8
        .value_kind:     by_value
      - .offset:         64
        .size:           8
        .value_kind:     by_value
      - .offset:         72
        .size:           8
        .value_kind:     by_value
      - .offset:         80
        .size:           4
        .value_kind:     by_value
    .group_segment_fixed_size: 0
    .kernarg_segment_align: 8
    .kernarg_segment_size: 84
    .language:       OpenCL C
    .language_version:
      - 2
      - 0
    .max_flat_workgroup_size: 1024
    .name:           _ZL18rocblas_her_kernelILi1024EPKdPK19rocblas_complex_numIdEPS3_EvbiT0_T1_lllT2_llli
    .private_segment_fixed_size: 0
    .sgpr_count:     38
    .sgpr_spill_count: 0
    .symbol:         _ZL18rocblas_her_kernelILi1024EPKdPK19rocblas_complex_numIdEPS3_EvbiT0_T1_lllT2_llli.kd
    .uniform_work_group_size: 1
    .uses_dynamic_stack: false
    .vgpr_count:     23
    .vgpr_spill_count: 0
    .wavefront_size: 32
    .workgroup_processor_mode: 1
  - .args:
      - .offset:         0
        .size:           1
        .value_kind:     by_value
      - .offset:         4
        .size:           4
        .value_kind:     by_value
      - .offset:         8
        .size:           8
        .value_kind:     by_value
      - .address_space:  global
        .offset:         16
        .size:           8
        .value_kind:     global_buffer
      - .offset:         24
        .size:           8
        .value_kind:     by_value
      - .offset:         32
        .size:           8
        .value_kind:     by_value
      - .offset:         40
        .size:           8
        .value_kind:     by_value
      - .address_space:  global
        .offset:         48
        .size:           8
        .value_kind:     global_buffer
      - .offset:         56
        .size:           8
        .value_kind:     by_value
      - .offset:         64
        .size:           8
        .value_kind:     by_value
      - .offset:         72
        .size:           8
        .value_kind:     by_value
      - .offset:         80
        .size:           4
        .value_kind:     by_value
    .group_segment_fixed_size: 0
    .kernarg_segment_align: 8
    .kernarg_segment_size: 84
    .language:       OpenCL C
    .language_version:
      - 2
      - 0
    .max_flat_workgroup_size: 1024
    .name:           _ZL18rocblas_her_kernelILi1024EdPK19rocblas_complex_numIdEPS1_EvbiT0_T1_lllT2_llli
    .private_segment_fixed_size: 0
    .sgpr_count:     34
    .sgpr_spill_count: 0
    .symbol:         _ZL18rocblas_her_kernelILi1024EdPK19rocblas_complex_numIdEPS1_EvbiT0_T1_lllT2_llli.kd
    .uniform_work_group_size: 1
    .uses_dynamic_stack: false
    .vgpr_count:     23
    .vgpr_spill_count: 0
    .wavefront_size: 32
    .workgroup_processor_mode: 1
  - .args:
      - .offset:         0
        .size:           1
        .value_kind:     by_value
      - .offset:         4
        .size:           4
        .value_kind:     by_value
      - .address_space:  global
        .offset:         8
        .size:           8
        .value_kind:     global_buffer
      - .address_space:  global
        .offset:         16
        .size:           8
        .value_kind:     global_buffer
      - .offset:         24
        .size:           8
        .value_kind:     by_value
      - .offset:         32
        .size:           8
        .value_kind:     by_value
      - .offset:         40
        .size:           8
        .value_kind:     by_value
      - .address_space:  global
        .offset:         48
        .size:           8
        .value_kind:     global_buffer
      - .offset:         56
        .size:           8
        .value_kind:     by_value
      - .offset:         64
        .size:           8
        .value_kind:     by_value
      - .offset:         72
        .size:           8
        .value_kind:     by_value
      - .offset:         80
        .size:           4
        .value_kind:     by_value
    .group_segment_fixed_size: 0
    .kernarg_segment_align: 8
    .kernarg_segment_size: 84
    .language:       OpenCL C
    .language_version:
      - 2
      - 0
    .max_flat_workgroup_size: 1024
    .name:           _ZL18rocblas_her_kernelILi1024EPKfPKPK19rocblas_complex_numIfEPKPS3_EvbiT0_T1_lllT2_llli
    .private_segment_fixed_size: 0
    .sgpr_count:     28
    .sgpr_spill_count: 0
    .symbol:         _ZL18rocblas_her_kernelILi1024EPKfPKPK19rocblas_complex_numIfEPKPS3_EvbiT0_T1_lllT2_llli.kd
    .uniform_work_group_size: 1
    .uses_dynamic_stack: false
    .vgpr_count:     16
    .vgpr_spill_count: 0
    .wavefront_size: 32
    .workgroup_processor_mode: 1
  - .args:
      - .offset:         0
        .size:           1
        .value_kind:     by_value
      - .offset:         4
        .size:           4
        .value_kind:     by_value
      - .offset:         8
        .size:           4
        .value_kind:     by_value
      - .address_space:  global
        .offset:         16
        .size:           8
        .value_kind:     global_buffer
      - .offset:         24
        .size:           8
        .value_kind:     by_value
      - .offset:         32
        .size:           8
        .value_kind:     by_value
      - .offset:         40
        .size:           8
        .value_kind:     by_value
      - .address_space:  global
        .offset:         48
        .size:           8
        .value_kind:     global_buffer
      - .offset:         56
        .size:           8
        .value_kind:     by_value
      - .offset:         64
        .size:           8
        .value_kind:     by_value
      - .offset:         72
        .size:           8
        .value_kind:     by_value
      - .offset:         80
        .size:           4
        .value_kind:     by_value
    .group_segment_fixed_size: 0
    .kernarg_segment_align: 8
    .kernarg_segment_size: 84
    .language:       OpenCL C
    .language_version:
      - 2
      - 0
    .max_flat_workgroup_size: 1024
    .name:           _ZL18rocblas_her_kernelILi1024EfPKPK19rocblas_complex_numIfEPKPS1_EvbiT0_T1_lllT2_llli
    .private_segment_fixed_size: 0
    .sgpr_count:     29
    .sgpr_spill_count: 0
    .symbol:         _ZL18rocblas_her_kernelILi1024EfPKPK19rocblas_complex_numIfEPKPS1_EvbiT0_T1_lllT2_llli.kd
    .uniform_work_group_size: 1
    .uses_dynamic_stack: false
    .vgpr_count:     16
    .vgpr_spill_count: 0
    .wavefront_size: 32
    .workgroup_processor_mode: 1
  - .args:
      - .offset:         0
        .size:           1
        .value_kind:     by_value
      - .offset:         4
        .size:           4
        .value_kind:     by_value
      - .address_space:  global
        .offset:         8
        .size:           8
        .value_kind:     global_buffer
      - .address_space:  global
        .offset:         16
        .size:           8
        .value_kind:     global_buffer
      - .offset:         24
        .size:           8
        .value_kind:     by_value
      - .offset:         32
        .size:           8
        .value_kind:     by_value
      - .offset:         40
        .size:           8
        .value_kind:     by_value
      - .address_space:  global
        .offset:         48
        .size:           8
        .value_kind:     global_buffer
      - .offset:         56
        .size:           8
        .value_kind:     by_value
      - .offset:         64
        .size:           8
        .value_kind:     by_value
      - .offset:         72
        .size:           8
        .value_kind:     by_value
      - .offset:         80
        .size:           4
        .value_kind:     by_value
    .group_segment_fixed_size: 0
    .kernarg_segment_align: 8
    .kernarg_segment_size: 84
    .language:       OpenCL C
    .language_version:
      - 2
      - 0
    .max_flat_workgroup_size: 1024
    .name:           _ZL18rocblas_her_kernelILi1024EPKdPKPK19rocblas_complex_numIdEPKPS3_EvbiT0_T1_lllT2_llli
    .private_segment_fixed_size: 0
    .sgpr_count:     30
    .sgpr_spill_count: 0
    .symbol:         _ZL18rocblas_her_kernelILi1024EPKdPKPK19rocblas_complex_numIdEPKPS3_EvbiT0_T1_lllT2_llli.kd
    .uniform_work_group_size: 1
    .uses_dynamic_stack: false
    .vgpr_count:     23
    .vgpr_spill_count: 0
    .wavefront_size: 32
    .workgroup_processor_mode: 1
  - .args:
      - .offset:         0
        .size:           1
        .value_kind:     by_value
      - .offset:         4
        .size:           4
        .value_kind:     by_value
      - .offset:         8
        .size:           8
        .value_kind:     by_value
      - .address_space:  global
        .offset:         16
        .size:           8
        .value_kind:     global_buffer
      - .offset:         24
        .size:           8
        .value_kind:     by_value
      - .offset:         32
        .size:           8
        .value_kind:     by_value
      - .offset:         40
        .size:           8
        .value_kind:     by_value
      - .address_space:  global
        .offset:         48
        .size:           8
        .value_kind:     global_buffer
      - .offset:         56
        .size:           8
        .value_kind:     by_value
      - .offset:         64
        .size:           8
        .value_kind:     by_value
      - .offset:         72
        .size:           8
        .value_kind:     by_value
      - .offset:         80
        .size:           4
        .value_kind:     by_value
    .group_segment_fixed_size: 0
    .kernarg_segment_align: 8
    .kernarg_segment_size: 84
    .language:       OpenCL C
    .language_version:
      - 2
      - 0
    .max_flat_workgroup_size: 1024
    .name:           _ZL18rocblas_her_kernelILi1024EdPKPK19rocblas_complex_numIdEPKPS1_EvbiT0_T1_lllT2_llli
    .private_segment_fixed_size: 0
    .sgpr_count:     31
    .sgpr_spill_count: 0
    .symbol:         _ZL18rocblas_her_kernelILi1024EdPKPK19rocblas_complex_numIdEPKPS1_EvbiT0_T1_lllT2_llli.kd
    .uniform_work_group_size: 1
    .uses_dynamic_stack: false
    .vgpr_count:     23
    .vgpr_spill_count: 0
    .wavefront_size: 32
    .workgroup_processor_mode: 1
amdhsa.target:   amdgcn-amd-amdhsa--gfx1100
amdhsa.version:
  - 1
  - 2
...

	.end_amdgpu_metadata
